;; amdgpu-corpus repo=ROCm/rocFFT kind=compiled arch=gfx950 opt=O3
	.text
	.amdgcn_target "amdgcn-amd-amdhsa--gfx950"
	.amdhsa_code_object_version 6
	.protected	fft_rtc_fwd_len1950_factors_13_5_10_3_wgs_195_tpt_195_sp_ip_CI_sbrr_dirReg ; -- Begin function fft_rtc_fwd_len1950_factors_13_5_10_3_wgs_195_tpt_195_sp_ip_CI_sbrr_dirReg
	.globl	fft_rtc_fwd_len1950_factors_13_5_10_3_wgs_195_tpt_195_sp_ip_CI_sbrr_dirReg
	.p2align	8
	.type	fft_rtc_fwd_len1950_factors_13_5_10_3_wgs_195_tpt_195_sp_ip_CI_sbrr_dirReg,@function
fft_rtc_fwd_len1950_factors_13_5_10_3_wgs_195_tpt_195_sp_ip_CI_sbrr_dirReg: ; @fft_rtc_fwd_len1950_factors_13_5_10_3_wgs_195_tpt_195_sp_ip_CI_sbrr_dirReg
; %bb.0:
	s_load_dwordx2 s[12:13], s[0:1], 0x18
	s_load_dwordx4 s[4:7], s[0:1], 0x0
	s_load_dwordx2 s[10:11], s[0:1], 0x50
	v_mul_u32_u24_e32 v1, 0x151, v0
	v_add_u32_sdwa v6, s2, v1 dst_sel:DWORD dst_unused:UNUSED_PAD src0_sel:DWORD src1_sel:WORD_1
	s_waitcnt lgkmcnt(0)
	s_load_dwordx2 s[8:9], s[12:13], 0x0
	v_mov_b32_e32 v4, 0
	v_cmp_lt_u64_e64 s[2:3], s[6:7], 2
	v_mov_b32_e32 v7, v4
	s_and_b64 vcc, exec, s[2:3]
	v_mov_b64_e32 v[2:3], 0
	s_cbranch_vccnz .LBB0_8
; %bb.1:
	s_load_dwordx2 s[2:3], s[0:1], 0x10
	s_add_u32 s14, s12, 8
	s_addc_u32 s15, s13, 0
	s_mov_b64 s[16:17], 1
	v_mov_b64_e32 v[2:3], 0
	s_waitcnt lgkmcnt(0)
	s_add_u32 s18, s2, 8
	s_addc_u32 s19, s3, 0
.LBB0_2:                                ; =>This Inner Loop Header: Depth=1
	s_load_dwordx2 s[20:21], s[18:19], 0x0
                                        ; implicit-def: $vgpr8_vgpr9
	s_waitcnt lgkmcnt(0)
	v_or_b32_e32 v5, s21, v7
	v_cmp_ne_u64_e32 vcc, 0, v[4:5]
	s_and_saveexec_b64 s[2:3], vcc
	s_xor_b64 s[22:23], exec, s[2:3]
	s_cbranch_execz .LBB0_4
; %bb.3:                                ;   in Loop: Header=BB0_2 Depth=1
	v_cvt_f32_u32_e32 v1, s20
	v_cvt_f32_u32_e32 v5, s21
	s_sub_u32 s2, 0, s20
	s_subb_u32 s3, 0, s21
	v_fmac_f32_e32 v1, 0x4f800000, v5
	v_rcp_f32_e32 v1, v1
	s_nop 0
	v_mul_f32_e32 v1, 0x5f7ffffc, v1
	v_mul_f32_e32 v5, 0x2f800000, v1
	v_trunc_f32_e32 v5, v5
	v_fmac_f32_e32 v1, 0xcf800000, v5
	v_cvt_u32_f32_e32 v5, v5
	v_cvt_u32_f32_e32 v1, v1
	v_mul_lo_u32 v8, s2, v5
	v_mul_hi_u32 v10, s2, v1
	v_mul_lo_u32 v9, s3, v1
	v_add_u32_e32 v10, v10, v8
	v_mul_lo_u32 v12, s2, v1
	v_add_u32_e32 v13, v10, v9
	v_mul_hi_u32 v8, v1, v12
	v_mul_hi_u32 v11, v1, v13
	v_mul_lo_u32 v10, v1, v13
	v_mov_b32_e32 v9, v4
	v_lshl_add_u64 v[8:9], v[8:9], 0, v[10:11]
	v_mul_hi_u32 v11, v5, v12
	v_mul_lo_u32 v12, v5, v12
	v_add_co_u32_e32 v8, vcc, v8, v12
	v_mul_hi_u32 v10, v5, v13
	s_nop 0
	v_addc_co_u32_e32 v8, vcc, v9, v11, vcc
	v_mov_b32_e32 v9, v4
	s_nop 0
	v_addc_co_u32_e32 v11, vcc, 0, v10, vcc
	v_mul_lo_u32 v10, v5, v13
	v_lshl_add_u64 v[8:9], v[8:9], 0, v[10:11]
	v_add_co_u32_e32 v1, vcc, v1, v8
	v_mul_lo_u32 v10, s2, v1
	s_nop 0
	v_addc_co_u32_e32 v5, vcc, v5, v9, vcc
	v_mul_lo_u32 v8, s2, v5
	v_mul_hi_u32 v9, s2, v1
	v_add_u32_e32 v8, v9, v8
	v_mul_lo_u32 v9, s3, v1
	v_add_u32_e32 v12, v8, v9
	v_mul_hi_u32 v14, v5, v10
	v_mul_lo_u32 v15, v5, v10
	v_mul_hi_u32 v9, v1, v12
	v_mul_lo_u32 v8, v1, v12
	v_mul_hi_u32 v10, v1, v10
	v_mov_b32_e32 v11, v4
	v_lshl_add_u64 v[8:9], v[10:11], 0, v[8:9]
	v_add_co_u32_e32 v8, vcc, v8, v15
	v_mul_hi_u32 v13, v5, v12
	s_nop 0
	v_addc_co_u32_e32 v8, vcc, v9, v14, vcc
	v_mul_lo_u32 v10, v5, v12
	s_nop 0
	v_addc_co_u32_e32 v11, vcc, 0, v13, vcc
	v_mov_b32_e32 v9, v4
	v_lshl_add_u64 v[8:9], v[8:9], 0, v[10:11]
	v_add_co_u32_e32 v1, vcc, v1, v8
	v_mul_hi_u32 v10, v6, v1
	s_nop 0
	v_addc_co_u32_e32 v5, vcc, v5, v9, vcc
	v_mad_u64_u32 v[8:9], s[2:3], v6, v5, 0
	v_mov_b32_e32 v11, v4
	v_lshl_add_u64 v[8:9], v[10:11], 0, v[8:9]
	v_mad_u64_u32 v[12:13], s[2:3], v7, v1, 0
	v_add_co_u32_e32 v1, vcc, v8, v12
	v_mad_u64_u32 v[10:11], s[2:3], v7, v5, 0
	s_nop 0
	v_addc_co_u32_e32 v8, vcc, v9, v13, vcc
	v_mov_b32_e32 v9, v4
	s_nop 0
	v_addc_co_u32_e32 v11, vcc, 0, v11, vcc
	v_lshl_add_u64 v[8:9], v[8:9], 0, v[10:11]
	v_mul_lo_u32 v1, s21, v8
	v_mul_lo_u32 v5, s20, v9
	v_mad_u64_u32 v[10:11], s[2:3], s20, v8, 0
	v_add3_u32 v1, v11, v5, v1
	v_sub_u32_e32 v5, v7, v1
	v_mov_b32_e32 v11, s21
	v_sub_co_u32_e32 v14, vcc, v6, v10
	v_lshl_add_u64 v[12:13], v[8:9], 0, 1
	s_nop 0
	v_subb_co_u32_e64 v5, s[2:3], v5, v11, vcc
	v_subrev_co_u32_e64 v10, s[2:3], s20, v14
	v_subb_co_u32_e32 v1, vcc, v7, v1, vcc
	s_nop 0
	v_subbrev_co_u32_e64 v5, s[2:3], 0, v5, s[2:3]
	v_cmp_le_u32_e64 s[2:3], s21, v5
	v_cmp_le_u32_e32 vcc, s21, v1
	s_nop 0
	v_cndmask_b32_e64 v11, 0, -1, s[2:3]
	v_cmp_le_u32_e64 s[2:3], s20, v10
	s_nop 1
	v_cndmask_b32_e64 v10, 0, -1, s[2:3]
	v_cmp_eq_u32_e64 s[2:3], s21, v5
	s_nop 1
	v_cndmask_b32_e64 v5, v11, v10, s[2:3]
	v_lshl_add_u64 v[10:11], v[8:9], 0, 2
	v_cmp_ne_u32_e64 s[2:3], 0, v5
	s_nop 1
	v_cndmask_b32_e64 v5, v13, v11, s[2:3]
	v_cndmask_b32_e64 v11, 0, -1, vcc
	v_cmp_le_u32_e32 vcc, s20, v14
	s_nop 1
	v_cndmask_b32_e64 v13, 0, -1, vcc
	v_cmp_eq_u32_e32 vcc, s21, v1
	s_nop 1
	v_cndmask_b32_e32 v1, v11, v13, vcc
	v_cmp_ne_u32_e32 vcc, 0, v1
	v_cndmask_b32_e64 v1, v12, v10, s[2:3]
	s_nop 0
	v_cndmask_b32_e32 v9, v9, v5, vcc
	v_cndmask_b32_e32 v8, v8, v1, vcc
.LBB0_4:                                ;   in Loop: Header=BB0_2 Depth=1
	s_andn2_saveexec_b64 s[2:3], s[22:23]
	s_cbranch_execz .LBB0_6
; %bb.5:                                ;   in Loop: Header=BB0_2 Depth=1
	v_cvt_f32_u32_e32 v1, s20
	s_sub_i32 s22, 0, s20
	v_rcp_iflag_f32_e32 v1, v1
	s_nop 0
	v_mul_f32_e32 v1, 0x4f7ffffe, v1
	v_cvt_u32_f32_e32 v1, v1
	v_mul_lo_u32 v5, s22, v1
	v_mul_hi_u32 v5, v1, v5
	v_add_u32_e32 v1, v1, v5
	v_mul_hi_u32 v1, v6, v1
	v_mul_lo_u32 v5, v1, s20
	v_sub_u32_e32 v5, v6, v5
	v_add_u32_e32 v8, 1, v1
	v_subrev_u32_e32 v9, s20, v5
	v_cmp_le_u32_e32 vcc, s20, v5
	s_nop 1
	v_cndmask_b32_e32 v5, v5, v9, vcc
	v_cndmask_b32_e32 v1, v1, v8, vcc
	v_add_u32_e32 v8, 1, v1
	v_cmp_le_u32_e32 vcc, s20, v5
	v_mov_b32_e32 v9, v4
	s_nop 0
	v_cndmask_b32_e32 v8, v1, v8, vcc
.LBB0_6:                                ;   in Loop: Header=BB0_2 Depth=1
	s_or_b64 exec, exec, s[2:3]
	v_mad_u64_u32 v[10:11], s[2:3], v8, s20, 0
	s_load_dwordx2 s[2:3], s[14:15], 0x0
	v_mul_lo_u32 v1, v9, s20
	v_mul_lo_u32 v5, v8, s21
	v_add3_u32 v1, v11, v5, v1
	v_sub_co_u32_e32 v5, vcc, v6, v10
	s_add_u32 s16, s16, 1
	s_nop 0
	v_subb_co_u32_e32 v1, vcc, v7, v1, vcc
	s_addc_u32 s17, s17, 0
	s_waitcnt lgkmcnt(0)
	v_mul_lo_u32 v1, s2, v1
	v_mul_lo_u32 v6, s3, v5
	v_mad_u64_u32 v[2:3], s[2:3], s2, v5, v[2:3]
	s_add_u32 s14, s14, 8
	v_add3_u32 v3, v6, v3, v1
	s_addc_u32 s15, s15, 0
	v_mov_b64_e32 v[6:7], s[6:7]
	s_add_u32 s18, s18, 8
	v_cmp_ge_u64_e32 vcc, s[16:17], v[6:7]
	s_addc_u32 s19, s19, 0
	s_cbranch_vccnz .LBB0_9
; %bb.7:                                ;   in Loop: Header=BB0_2 Depth=1
	v_mov_b64_e32 v[6:7], v[8:9]
	s_branch .LBB0_2
.LBB0_8:
	v_mov_b64_e32 v[8:9], v[6:7]
.LBB0_9:
	s_lshl_b64 s[2:3], s[6:7], 3
	s_add_u32 s2, s12, s2
	s_addc_u32 s3, s13, s3
	s_load_dwordx2 s[6:7], s[2:3], 0x0
	s_load_dwordx2 s[12:13], s[0:1], 0x20
                                        ; implicit-def: $vgpr38
                                        ; implicit-def: $vgpr40
                                        ; implicit-def: $vgpr42
                                        ; implicit-def: $vgpr44
                                        ; implicit-def: $vgpr46
                                        ; implicit-def: $vgpr20
                                        ; implicit-def: $vgpr48
                                        ; implicit-def: $vgpr50
                                        ; implicit-def: $vgpr52
                                        ; implicit-def: $vgpr54
                                        ; implicit-def: $vgpr26
                                        ; implicit-def: $vgpr36
	s_waitcnt lgkmcnt(0)
	v_mad_u64_u32 v[2:3], s[0:1], s6, v8, v[2:3]
	v_mul_lo_u32 v1, s6, v9
	v_mul_lo_u32 v4, s7, v8
	s_mov_b32 s0, 0x1501502
	v_add3_u32 v3, v4, v3, v1
	v_mul_hi_u32 v1, v0, s0
	v_mul_u32_u24_e32 v1, 0xc3, v1
	v_sub_u32_e32 v104, v0, v1
	s_movk_i32 s0, 0x96
	v_cmp_gt_u64_e32 vcc, s[12:13], v[8:9]
	v_cmp_gt_u32_e64 s[0:1], s0, v104
	v_mov_b32_e32 v0, 0
	s_and_b64 s[6:7], vcc, s[0:1]
	v_lshl_add_u64 v[12:13], v[2:3], 3, s[10:11]
	v_mov_b32_e32 v1, v0
	s_and_saveexec_b64 s[2:3], s[6:7]
	s_cbranch_execz .LBB0_11
; %bb.10:
	v_mad_u64_u32 v[0:1], s[6:7], s8, v104, 0
	v_mov_b32_e32 v2, v1
	v_mad_u64_u32 v[2:3], s[6:7], s9, v104, v[2:3]
	v_mov_b32_e32 v1, v2
	v_add_u32_e32 v5, 0x96, v104
	v_lshl_add_u64 v[2:3], v[0:1], 3, v[12:13]
	v_mad_u64_u32 v[0:1], s[6:7], s8, v5, 0
	v_mov_b32_e32 v4, v1
	v_mad_u64_u32 v[4:5], s[6:7], s9, v5, v[4:5]
	v_mov_b32_e32 v1, v4
	v_add_u32_e32 v7, 0x12c, v104
	v_lshl_add_u64 v[4:5], v[0:1], 3, v[12:13]
	;; [unrolled: 6-line block ×3, first 2 shown]
	v_mad_u64_u32 v[0:1], s[6:7], s8, v9, 0
	v_mov_b32_e32 v8, v1
	v_mad_u64_u32 v[8:9], s[6:7], s9, v9, v[8:9]
	v_mov_b32_e32 v1, v8
	v_lshl_add_u64 v[8:9], v[0:1], 3, v[12:13]
	global_load_dwordx2 v[0:1], v[2:3], off
	global_load_dwordx2 v[36:37], v[4:5], off
	;; [unrolled: 1-line block ×4, first 2 shown]
	v_add_u32_e32 v5, 0x258, v104
	v_mad_u64_u32 v[2:3], s[6:7], s8, v5, 0
	v_mov_b32_e32 v4, v3
	v_mad_u64_u32 v[4:5], s[6:7], s9, v5, v[4:5]
	v_add_u32_e32 v7, 0x2ee, v104
	v_mov_b32_e32 v3, v4
	v_mad_u64_u32 v[4:5], s[6:7], s8, v7, 0
	v_mov_b32_e32 v6, v5
	v_mad_u64_u32 v[6:7], s[6:7], s9, v7, v[6:7]
	v_add_u32_e32 v9, 0x384, v104
	v_mov_b32_e32 v5, v6
	;; [unrolled: 5-line block ×8, first 2 shown]
	v_mad_u64_u32 v[22:23], s[6:7], s8, v25, 0
	v_mov_b32_e32 v24, v23
	v_mad_u64_u32 v[24:25], s[6:7], s9, v25, v[24:25]
	v_lshl_add_u64 v[2:3], v[2:3], 3, v[12:13]
	v_mov_b32_e32 v23, v24
	v_lshl_add_u64 v[4:5], v[4:5], 3, v[12:13]
	v_lshl_add_u64 v[6:7], v[6:7], 3, v[12:13]
	v_lshl_add_u64 v[8:9], v[8:9], 3, v[12:13]
	v_lshl_add_u64 v[10:11], v[10:11], 3, v[12:13]
	v_lshl_add_u64 v[14:15], v[14:15], 3, v[12:13]
	v_lshl_add_u64 v[16:17], v[16:17], 3, v[12:13]
	v_lshl_add_u64 v[18:19], v[18:19], 3, v[12:13]
	v_lshl_add_u64 v[22:23], v[22:23], 3, v[12:13]
	global_load_dwordx2 v[48:49], v[2:3], off
	global_load_dwordx2 v[50:51], v[4:5], off
	;; [unrolled: 1-line block ×9, first 2 shown]
.LBB0_11:
	s_or_b64 exec, exec, s[2:3]
	s_waitcnt vmcnt(0)
	v_pk_add_f32 v[4:5], v[36:37], v[38:39] neg_lo:[0,1] neg_hi:[0,1]
	v_pk_add_f32 v[22:23], v[36:37], v[38:39]
	v_pk_add_f32 v[2:3], v[36:37], v[38:39]
	v_mov_b32_e32 v23, v4
	v_mov_b32_e32 v2, v5
	v_pk_add_f32 v[6:7], v[26:27], v[40:41] neg_lo:[0,1] neg_hi:[0,1]
	v_pk_add_f32 v[24:25], v[26:27], v[40:41]
	v_pk_add_f32 v[4:5], v[26:27], v[40:41]
	v_mov_b32_e32 v25, v6
	v_mov_b32_e32 v4, v7
	v_pk_add_f32 v[8:9], v[20:21], v[42:43] neg_lo:[0,1] neg_hi:[0,1]
	v_pk_add_f32 v[28:29], v[20:21], v[42:43]
	v_pk_add_f32 v[6:7], v[20:21], v[42:43]
	s_mov_b32 s2, 0xbf52af12
	v_mov_b32_e32 v29, v8
	v_mov_b32_e32 v6, v9
	v_pk_add_f32 v[10:11], v[48:49], v[44:45] neg_lo:[0,1] neg_hi:[0,1]
	v_pk_add_f32 v[30:31], v[48:49], v[44:45]
	v_pk_add_f32 v[8:9], v[48:49], v[44:45]
	s_mov_b32 s3, 0x3f116cb1
	s_mov_b32 s6, 0xbf6f5d39
	v_mov_b32_e32 v31, v10
	v_mov_b32_e32 v8, v11
	v_pk_add_f32 v[14:15], v[50:51], v[46:47] neg_lo:[0,1] neg_hi:[0,1]
	v_pk_add_f32 v[32:33], v[50:51], v[46:47]
	v_pk_add_f32 v[10:11], v[50:51], v[46:47]
	s_mov_b32 s30, s3
	s_mov_b32 s31, s2
	;; [unrolled: 1-line block ×3, first 2 shown]
	v_mov_b32_e32 v33, v14
	v_mov_b32_e32 v10, v15
	v_pk_add_f32 v[14:15], v[52:53], v[54:55] neg_lo:[0,1] neg_hi:[0,1]
	v_pk_add_f32 v[34:35], v[52:53], v[54:55]
	v_pk_add_f32 v[18:19], v[52:53], v[54:55]
	v_pk_mul_f32 v[58:59], v[22:23], s[30:31]
	s_mov_b32 s24, s7
	s_mov_b32 s25, s6
	;; [unrolled: 1-line block ×3, first 2 shown]
	v_mov_b32_e32 v35, v14
	v_mov_b32_e32 v18, v15
	v_pk_fma_f32 v[14:15], v[2:3], s[2:3], v[58:59] neg_lo:[0,0,1] neg_hi:[0,0,1]
	v_pk_fma_f32 v[56:57], v[2:3], s[2:3], v[58:59]
	v_pk_mul_f32 v[60:61], v[24:25], s[24:25]
	s_mov_b32 s11, 0xbf788fa5
	v_mov_b32_e32 v14, v56
	v_pk_fma_f32 v[16:17], v[4:5], s[6:7], v[60:61] neg_lo:[0,0,1] neg_hi:[0,0,1]
	v_pk_fma_f32 v[62:63], v[4:5], s[6:7], v[60:61]
	s_mov_b32 s28, s11
	s_mov_b32 s29, s10
	;; [unrolled: 1-line block ×3, first 2 shown]
	v_pk_add_f32 v[14:15], v[0:1], v[14:15]
	v_mov_b32_e32 v16, v62
	v_pk_mul_f32 v[64:65], v[28:29], s[28:29]
	s_mov_b32 s15, 0xbf3f9e67
	v_pk_add_f32 v[14:15], v[14:15], v[16:17]
	v_pk_fma_f32 v[16:17], v[6:7], s[10:11], v[64:65] neg_lo:[0,0,1] neg_hi:[0,0,1]
	v_pk_fma_f32 v[66:67], v[6:7], s[10:11], v[64:65]
	s_mov_b32 s38, s15
	s_mov_b32 s39, s14
	;; [unrolled: 1-line block ×3, first 2 shown]
	v_mov_b32_e32 v16, v66
	v_pk_mul_f32 v[68:69], v[30:31], s[38:39]
	s_mov_b32 s23, 0x3df6dbef
	v_pk_add_f32 v[14:15], v[14:15], v[16:17]
	v_pk_fma_f32 v[16:17], v[8:9], s[14:15], v[68:69] neg_lo:[0,0,1] neg_hi:[0,0,1]
	v_pk_fma_f32 v[70:71], v[8:9], s[14:15], v[68:69]
	s_mov_b32 s26, s23
	s_mov_b32 s27, s22
	;; [unrolled: 1-line block ×3, first 2 shown]
	v_mov_b32_e32 v16, v70
	v_pk_mul_f32 v[72:73], v[32:33], s[26:27]
	s_mov_b32 s17, 0x3f62ad3f
	v_pk_add_f32 v[14:15], v[14:15], v[16:17]
	v_pk_fma_f32 v[16:17], v[10:11], s[22:23], v[72:73] neg_lo:[0,0,1] neg_hi:[0,0,1]
	v_pk_fma_f32 v[74:75], v[10:11], s[22:23], v[72:73]
	s_mov_b32 s34, s17
	s_mov_b32 s35, s16
	v_mov_b32_e32 v16, v74
	v_pk_mul_f32 v[76:77], v[34:35], s[34:35]
	s_mov_b32 s12, 0xbf7e222b
	v_pk_add_f32 v[14:15], v[14:15], v[16:17]
	v_pk_fma_f32 v[16:17], v[18:19], s[16:17], v[76:77] neg_lo:[0,0,1] neg_hi:[0,0,1]
	v_pk_fma_f32 v[78:79], v[18:19], s[16:17], v[76:77]
	s_mov_b32 s40, s23
	s_mov_b32 s41, s12
	v_mov_b32_e32 v16, v78
	s_mov_b32 s13, s23
	v_pk_mul_f32 v[82:83], v[22:23], s[40:41]
	v_pk_add_f32 v[14:15], v[14:15], v[16:17]
	v_pk_fma_f32 v[80:81], v[2:3], s[12:13], v[82:83]
	v_pk_fma_f32 v[16:17], v[2:3], s[12:13], v[82:83] neg_lo:[0,0,1] neg_hi:[0,0,1]
	v_pk_mul_f32 v[86:87], v[24:25], s[28:29]
	s_mov_b32 s42, 0x3f6f5d39
	v_mov_b32_e32 v16, v80
	v_pk_fma_f32 v[84:85], v[4:5], s[10:11], v[86:87]
	v_pk_fma_f32 v[88:89], v[4:5], s[10:11], v[86:87] neg_lo:[0,0,1] neg_hi:[0,0,1]
	s_mov_b32 s18, s7
	s_mov_b32 s19, s42
	v_pk_add_f32 v[16:17], v[0:1], v[16:17]
	v_mov_b32_e32 v88, v84
	s_mov_b32 s43, s7
	v_pk_mul_f32 v[90:91], v[28:29], s[18:19]
	v_pk_add_f32 v[16:17], v[16:17], v[88:89]
	v_pk_fma_f32 v[88:89], v[6:7], s[42:43], v[90:91]
	v_pk_fma_f32 v[92:93], v[6:7], s[42:43], v[90:91] neg_lo:[0,0,1] neg_hi:[0,0,1]
	v_pk_mul_f32 v[94:95], v[30:31], s[34:35]
	v_mov_b32_e32 v92, v88
	v_pk_add_f32 v[16:17], v[16:17], v[92:93]
	v_pk_fma_f32 v[92:93], v[8:9], s[16:17], v[94:95]
	v_pk_fma_f32 v[96:97], v[8:9], s[16:17], v[94:95] neg_lo:[0,0,1] neg_hi:[0,0,1]
	v_pk_mul_f32 v[98:99], v[32:33], s[30:31]
	v_mov_b32_e32 v96, v92
	s_mov_b32 s18, 0xbf29c268
	v_pk_add_f32 v[16:17], v[16:17], v[96:97]
	v_pk_fma_f32 v[96:97], v[10:11], s[2:3], v[98:99]
	v_pk_fma_f32 v[100:101], v[10:11], s[2:3], v[98:99] neg_lo:[0,0,1] neg_hi:[0,0,1]
	s_mov_b32 s36, s15
	s_mov_b32 s37, s18
	v_mov_b32_e32 v100, v96
	s_mov_b32 s19, s15
	v_pk_mul_f32 v[102:103], v[34:35], s[36:37]
	v_pk_add_f32 v[16:17], v[16:17], v[100:101]
	v_pk_fma_f32 v[100:101], v[18:19], s[18:19], v[102:103]
	v_pk_fma_f32 v[106:107], v[18:19], s[18:19], v[102:103] neg_lo:[0,0,1] neg_hi:[0,0,1]
	s_nop 0
	v_mov_b32_e32 v106, v100
	v_pk_add_f32 v[16:17], v[16:17], v[106:107]
	s_and_saveexec_b64 s[20:21], s[0:1]
	s_cbranch_execz .LBB0_13
; %bb.12:
	v_pk_add_f32 v[36:37], v[0:1], v[36:37]
	s_mov_b32 s1, 0xbeedf032
	v_pk_add_f32 v[26:27], v[36:37], v[26:27]
	s_mov_b32 s0, s17
	v_pk_add_f32 v[20:21], v[26:27], v[20:21]
	v_pk_mul_f32 v[106:107], v[2:3], s[2:3]
	v_pk_add_f32 v[20:21], v[20:21], v[48:49]
	v_pk_mul_f32 v[108:109], v[4:5], s[6:7]
	v_pk_add_f32 v[20:21], v[20:21], v[50:51]
	v_pk_add_f32 v[58:59], v[58:59], v[106:107] neg_lo:[0,1] neg_hi:[0,1]
	v_pk_add_f32 v[20:21], v[20:21], v[52:53]
	v_mov_b32_e32 v59, v57
	v_pk_add_f32 v[20:21], v[20:21], v[54:55]
	v_pk_add_f32 v[60:61], v[60:61], v[108:109] neg_lo:[0,1] neg_hi:[0,1]
	v_pk_add_f32 v[20:21], v[46:47], v[20:21]
	v_pk_mul_f32 v[110:111], v[6:7], s[10:11]
	v_pk_add_f32 v[20:21], v[44:45], v[20:21]
	v_pk_add_f32 v[58:59], v[0:1], v[58:59]
	;; [unrolled: 1-line block ×3, first 2 shown]
	v_mov_b32_e32 v61, v63
	v_pk_add_f32 v[20:21], v[40:41], v[20:21]
	v_pk_add_f32 v[58:59], v[58:59], v[60:61]
	;; [unrolled: 1-line block ×3, first 2 shown]
	v_pk_mul_f32 v[20:21], v[22:23], s[0:1]
	s_mov_b32 s0, s1
	s_mov_b32 s1, s17
	v_pk_fma_f32 v[36:37], v[2:3], s[0:1], v[20:21] neg_lo:[1,0,0] neg_hi:[1,0,0]
	v_pk_fma_f32 v[26:27], v[2:3], s[0:1], v[20:21]
	v_pk_mul_f32 v[38:39], v[24:25], s[30:31]
	v_mov_b32_e32 v37, v27
	v_pk_add_f32 v[40:41], v[0:1], v[36:37]
	v_pk_fma_f32 v[42:43], v[4:5], s[2:3], v[38:39] neg_lo:[1,0,0] neg_hi:[1,0,0]
	v_pk_fma_f32 v[36:37], v[4:5], s[2:3], v[38:39]
	v_pk_add_f32 v[60:61], v[64:65], v[110:111] neg_lo:[0,1] neg_hi:[0,1]
	v_mov_b32_e32 v43, v37
	v_pk_add_f32 v[44:45], v[40:41], v[42:43]
	v_pk_mul_f32 v[42:43], v[28:29], s[40:41]
	v_pk_mul_f32 v[112:113], v[8:9], s[14:15]
	v_pk_fma_f32 v[46:47], v[6:7], s[12:13], v[42:43] neg_lo:[1,0,0] neg_hi:[1,0,0]
	v_pk_fma_f32 v[40:41], v[6:7], s[12:13], v[42:43]
	v_mov_b32_e32 v61, v67
	v_mov_b32_e32 v47, v41
	v_pk_add_f32 v[48:49], v[44:45], v[46:47]
	v_pk_mul_f32 v[46:47], v[30:31], s[24:25]
	v_pk_add_f32 v[58:59], v[58:59], v[60:61]
	v_pk_fma_f32 v[50:51], v[8:9], s[6:7], v[46:47] neg_lo:[1,0,0] neg_hi:[1,0,0]
	v_pk_fma_f32 v[44:45], v[8:9], s[6:7], v[46:47]
	v_pk_add_f32 v[60:61], v[68:69], v[112:113] neg_lo:[0,1] neg_hi:[0,1]
	v_mov_b32_e32 v51, v45
	v_pk_add_f32 v[52:53], v[48:49], v[50:51]
	v_pk_mul_f32 v[50:51], v[32:33], s[36:37]
	v_pk_mul_f32 v[114:115], v[10:11], s[22:23]
	v_pk_fma_f32 v[54:55], v[10:11], s[18:19], v[50:51] neg_lo:[1,0,0] neg_hi:[1,0,0]
	v_pk_fma_f32 v[48:49], v[10:11], s[18:19], v[50:51]
	v_mov_b32_e32 v61, v71
	v_mov_b32_e32 v55, v49
	v_pk_add_f32 v[58:59], v[58:59], v[60:61]
	v_pk_add_f32 v[60:61], v[72:73], v[114:115] neg_lo:[0,1] neg_hi:[0,1]
	v_pk_mul_f32 v[116:117], v[18:19], s[16:17]
	v_pk_add_f32 v[122:123], v[52:53], v[54:55]
	v_pk_mul_f32 v[54:55], v[34:35], s[28:29]
	v_mov_b32_e32 v61, v75
	v_pk_fma_f32 v[124:125], v[18:19], s[10:11], v[54:55] neg_lo:[1,0,0] neg_hi:[1,0,0]
	v_pk_fma_f32 v[52:53], v[18:19], s[10:11], v[54:55]
	v_pk_add_f32 v[58:59], v[58:59], v[60:61]
	v_pk_add_f32 v[60:61], v[76:77], v[116:117] neg_lo:[0,1] neg_hi:[0,1]
	v_pk_mul_f32 v[118:119], v[2:3], s[12:13]
	v_mov_b32_e32 v125, v53
	v_mov_b32_e32 v61, v79
	v_pk_add_f32 v[122:123], v[122:123], v[124:125]
	v_pk_mul_f32 v[124:125], v[4:5], s[10:11]
	s_movk_i32 s33, 0x68
	v_pk_add_f32 v[58:59], v[58:59], v[60:61]
	v_pk_add_f32 v[60:61], v[82:83], v[118:119] neg_lo:[0,1] neg_hi:[0,1]
	v_mad_u32_u24 v105, v104, s33, 0
	v_mov_b32_e32 v61, v81
	v_pk_add_f32 v[62:63], v[86:87], v[124:125] neg_lo:[0,1] neg_hi:[0,1]
	ds_write2_b64 v105, v[120:121], v[122:123] offset1:1
	v_pk_mul_f32 v[120:121], v[6:7], s[42:43]
	v_pk_add_f32 v[60:61], v[0:1], v[60:61]
	v_mov_b32_e32 v63, v85
	v_pk_add_f32 v[60:61], v[60:61], v[62:63]
	v_pk_add_f32 v[62:63], v[90:91], v[120:121] neg_lo:[0,1] neg_hi:[0,1]
	v_pk_mul_f32 v[122:123], v[8:9], s[16:17]
	v_mov_b32_e32 v63, v89
	v_pk_add_f32 v[60:61], v[60:61], v[62:63]
	v_pk_add_f32 v[62:63], v[94:95], v[122:123] neg_lo:[0,1] neg_hi:[0,1]
	v_pk_mul_f32 v[106:107], v[10:11], s[2:3]
	v_mov_b32_e32 v63, v93
	v_pk_mul_f32 v[56:57], v[18:19], s[18:19]
	v_pk_add_f32 v[60:61], v[60:61], v[62:63]
	v_pk_add_f32 v[62:63], v[98:99], v[106:107] neg_lo:[0,1] neg_hi:[0,1]
	v_pk_add_f32 v[56:57], v[102:103], v[56:57] neg_lo:[0,1] neg_hi:[0,1]
	v_mov_b32_e32 v63, v97
	v_pk_add_f32 v[60:61], v[60:61], v[62:63]
	v_mov_b32_e32 v57, v101
	v_pk_add_f32 v[56:57], v[60:61], v[56:57]
	ds_write2_b64 v105, v[58:59], v[56:57] offset0:2 offset1:3
	v_pk_mul_f32 v[56:57], v[22:23], s[24:25]
	v_pk_mul_f32 v[62:63], v[24:25], s[38:39]
	v_pk_fma_f32 v[58:59], v[2:3], s[6:7], v[56:57] neg_lo:[1,0,0] neg_hi:[1,0,0]
	v_pk_fma_f32 v[60:61], v[2:3], s[6:7], v[56:57]
	v_pk_fma_f32 v[64:65], v[4:5], s[14:15], v[62:63] neg_lo:[1,0,0] neg_hi:[1,0,0]
	v_mov_b32_e32 v59, v61
	v_pk_fma_f32 v[66:67], v[4:5], s[14:15], v[62:63]
	v_pk_add_f32 v[58:59], v[0:1], v[58:59]
	v_mov_b32_e32 v65, v67
	v_pk_add_f32 v[58:59], v[58:59], v[64:65]
	v_pk_mul_f32 v[64:65], v[28:29], s[34:35]
	s_mov_b32 s43, 0x3e750f2a
	v_pk_fma_f32 v[68:69], v[6:7], s[16:17], v[64:65] neg_lo:[1,0,0] neg_hi:[1,0,0]
	v_pk_fma_f32 v[70:71], v[6:7], s[16:17], v[64:65]
	s_mov_b32 s42, s11
	v_mov_b32_e32 v69, v71
	v_pk_add_f32 v[58:59], v[58:59], v[68:69]
	v_pk_mul_f32 v[68:69], v[30:31], s[40:41]
	s_mov_b32 s38, s43
	v_pk_fma_f32 v[72:73], v[8:9], s[12:13], v[68:69] neg_lo:[1,0,0] neg_hi:[1,0,0]
	v_pk_fma_f32 v[74:75], v[8:9], s[12:13], v[68:69]
	s_mov_b32 s39, s11
	;; [unrolled: 7-line block ×3, first 2 shown]
	v_mov_b32_e32 v77, v79
	v_pk_add_f32 v[58:59], v[58:59], v[76:77]
	v_pk_mul_f32 v[76:77], v[34:35], s[44:45]
	s_mov_b32 s40, s45
	s_mov_b32 s41, s3
	v_pk_fma_f32 v[80:81], v[18:19], s[40:41], v[76:77] neg_lo:[1,0,0] neg_hi:[1,0,0]
	v_pk_fma_f32 v[82:83], v[18:19], s[40:41], v[76:77]
	v_pk_mul_f32 v[88:89], v[24:25], s[26:27]
	v_mov_b32_e32 v81, v83
	v_pk_add_f32 v[58:59], v[58:59], v[80:81]
	v_pk_mul_f32 v[80:81], v[22:23], s[36:37]
	v_pk_fma_f32 v[90:91], v[4:5], s[22:23], v[88:89] neg_lo:[1,0,0] neg_hi:[1,0,0]
	v_pk_fma_f32 v[84:85], v[2:3], s[18:19], v[80:81] neg_lo:[1,0,0] neg_hi:[1,0,0]
	v_pk_fma_f32 v[86:87], v[2:3], s[18:19], v[80:81]
	v_pk_fma_f32 v[92:93], v[4:5], s[22:23], v[88:89]
	v_mov_b32_e32 v85, v87
	v_pk_add_f32 v[84:85], v[0:1], v[84:85]
	v_mov_b32_e32 v91, v93
	v_pk_add_f32 v[84:85], v[84:85], v[90:91]
	v_pk_mul_f32 v[90:91], v[28:29], s[30:31]
	v_pk_mul_f32 v[22:23], v[22:23], s[28:29]
	v_pk_fma_f32 v[94:95], v[6:7], s[2:3], v[90:91] neg_lo:[1,0,0] neg_hi:[1,0,0]
	v_pk_fma_f32 v[96:97], v[6:7], s[2:3], v[90:91]
	v_pk_mul_f32 v[24:25], v[24:25], s[34:35]
	v_mov_b32_e32 v95, v97
	v_pk_add_f32 v[84:85], v[84:85], v[94:95]
	v_pk_mul_f32 v[94:95], v[30:31], s[42:43]
	v_pk_fma_f32 v[112:113], v[4:5], s[16:17], v[24:25]
	v_pk_fma_f32 v[98:99], v[8:9], s[38:39], v[94:95] neg_lo:[1,0,0] neg_hi:[1,0,0]
	v_pk_fma_f32 v[100:101], v[8:9], s[38:39], v[94:95]
	v_pk_mul_f32 v[28:29], v[28:29], s[36:37]
	v_mov_b32_e32 v99, v101
	v_pk_add_f32 v[84:85], v[84:85], v[98:99]
	v_pk_mul_f32 v[98:99], v[32:33], s[34:35]
	v_pk_fma_f32 v[114:115], v[6:7], s[18:19], v[28:29]
	;; [unrolled: 7-line block ×3, first 2 shown]
	v_pk_fma_f32 v[108:109], v[18:19], s[6:7], v[102:103] neg_lo:[1,0,0] neg_hi:[1,0,0]
	v_pk_fma_f32 v[110:111], v[18:19], s[6:7], v[102:103]
	v_pk_mul_f32 v[32:33], v[32:33], s[24:25]
	v_mov_b32_e32 v109, v111
	v_pk_add_f32 v[84:85], v[84:85], v[108:109]
	ds_write2_b64 v105, v[58:59], v[84:85] offset0:4 offset1:5
	v_pk_fma_f32 v[58:59], v[2:3], s[10:11], v[22:23] neg_lo:[1,0,0] neg_hi:[1,0,0]
	v_pk_fma_f32 v[84:85], v[2:3], s[10:11], v[22:23]
	v_pk_fma_f32 v[108:109], v[4:5], s[16:17], v[24:25] neg_lo:[1,0,0] neg_hi:[1,0,0]
	v_mov_b32_e32 v59, v85
	v_pk_add_f32 v[58:59], v[0:1], v[58:59]
	v_mov_b32_e32 v109, v113
	v_pk_add_f32 v[58:59], v[58:59], v[108:109]
	v_pk_fma_f32 v[108:109], v[6:7], s[18:19], v[28:29] neg_lo:[1,0,0] neg_hi:[1,0,0]
	v_pk_fma_f32 v[24:25], v[4:5], s[16:17], v[24:25] neg_lo:[0,0,1] neg_hi:[0,0,1]
	v_mov_b32_e32 v109, v115
	v_pk_add_f32 v[58:59], v[58:59], v[108:109]
	v_pk_fma_f32 v[108:109], v[8:9], s[40:41], v[30:31] neg_lo:[1,0,0] neg_hi:[1,0,0]
	v_mov_b32_e32 v113, v25
	v_mov_b32_e32 v109, v117
	v_pk_fma_f32 v[24:25], v[6:7], s[18:19], v[28:29] neg_lo:[0,0,1] neg_hi:[0,0,1]
	v_pk_add_f32 v[58:59], v[58:59], v[108:109]
	v_pk_fma_f32 v[108:109], v[10:11], s[6:7], v[32:33] neg_lo:[1,0,0] neg_hi:[1,0,0]
	v_pk_fma_f32 v[118:119], v[10:11], s[6:7], v[32:33]
	v_pk_fma_f32 v[22:23], v[2:3], s[10:11], v[22:23] neg_lo:[0,0,1] neg_hi:[0,0,1]
	v_mov_b32_e32 v115, v25
	v_pk_fma_f32 v[24:25], v[8:9], s[40:41], v[30:31] neg_lo:[0,0,1] neg_hi:[0,0,1]
	v_mov_b32_e32 v109, v119
	v_pk_mul_f32 v[34:35], v[34:35], s[26:27]
	v_mov_b32_e32 v85, v23
	v_mov_b32_e32 v117, v25
	v_pk_fma_f32 v[24:25], v[10:11], s[6:7], v[32:33] neg_lo:[0,0,1] neg_hi:[0,0,1]
	v_pk_add_f32 v[58:59], v[58:59], v[108:109]
	v_pk_fma_f32 v[108:109], v[18:19], s[22:23], v[34:35] neg_lo:[1,0,0] neg_hi:[1,0,0]
	v_pk_fma_f32 v[120:121], v[18:19], s[22:23], v[34:35]
	v_pk_add_f32 v[22:23], v[0:1], v[84:85]
	v_mov_b32_e32 v119, v25
	v_pk_fma_f32 v[24:25], v[18:19], s[22:23], v[34:35] neg_lo:[0,0,1] neg_hi:[0,0,1]
	v_mov_b32_e32 v109, v121
	v_pk_add_f32 v[22:23], v[22:23], v[112:113]
	v_mov_b32_e32 v121, v25
	v_pk_fma_f32 v[24:25], v[4:5], s[22:23], v[88:89] neg_lo:[0,0,1] neg_hi:[0,0,1]
	v_pk_add_f32 v[22:23], v[22:23], v[114:115]
	v_mov_b32_e32 v93, v25
	v_pk_fma_f32 v[24:25], v[6:7], s[2:3], v[90:91] neg_lo:[0,0,1] neg_hi:[0,0,1]
	;; [unrolled: 3-line block ×4, first 2 shown]
	v_pk_add_f32 v[58:59], v[58:59], v[108:109]
	v_pk_add_f32 v[22:23], v[22:23], v[120:121]
	v_mov_b32_e32 v107, v25
	v_pk_fma_f32 v[24:25], v[18:19], s[6:7], v[102:103] neg_lo:[0,0,1] neg_hi:[0,0,1]
	ds_write2_b64 v105, v[58:59], v[22:23] offset0:6 offset1:7
	v_pk_fma_f32 v[22:23], v[2:3], s[18:19], v[80:81] neg_lo:[0,0,1] neg_hi:[0,0,1]
	v_mov_b32_e32 v111, v25
	v_pk_fma_f32 v[24:25], v[2:3], s[6:7], v[56:57] neg_lo:[0,0,1] neg_hi:[0,0,1]
	v_pk_fma_f32 v[2:3], v[2:3], s[0:1], v[20:21] neg_lo:[0,0,1] neg_hi:[0,0,1]
	v_mov_b32_e32 v87, v23
	v_mov_b32_e32 v61, v25
	v_pk_fma_f32 v[28:29], v[4:5], s[14:15], v[62:63] neg_lo:[0,0,1] neg_hi:[0,0,1]
	v_mov_b32_e32 v27, v3
	v_pk_fma_f32 v[2:3], v[4:5], s[2:3], v[38:39] neg_lo:[0,0,1] neg_hi:[0,0,1]
	v_pk_add_f32 v[22:23], v[0:1], v[86:87]
	v_pk_add_f32 v[24:25], v[0:1], v[60:61]
	v_mov_b32_e32 v67, v29
	v_pk_fma_f32 v[28:29], v[6:7], s[16:17], v[64:65] neg_lo:[0,0,1] neg_hi:[0,0,1]
	v_pk_add_f32 v[0:1], v[0:1], v[26:27]
	v_mov_b32_e32 v37, v3
	v_pk_fma_f32 v[2:3], v[6:7], s[12:13], v[42:43] neg_lo:[0,0,1] neg_hi:[0,0,1]
	v_pk_add_f32 v[22:23], v[22:23], v[92:93]
	v_pk_add_f32 v[24:25], v[24:25], v[66:67]
	v_mov_b32_e32 v71, v29
	v_pk_fma_f32 v[28:29], v[8:9], s[12:13], v[68:69] neg_lo:[0,0,1] neg_hi:[0,0,1]
	v_pk_add_f32 v[0:1], v[0:1], v[36:37]
	;; [unrolled: 7-line block ×4, first 2 shown]
	v_mov_b32_e32 v49, v3
	v_pk_fma_f32 v[2:3], v[18:19], s[10:11], v[54:55] neg_lo:[0,0,1] neg_hi:[0,0,1]
	v_pk_add_f32 v[22:23], v[22:23], v[106:107]
	v_pk_add_f32 v[24:25], v[24:25], v[78:79]
	v_mov_b32_e32 v83, v29
	v_pk_add_f32 v[0:1], v[0:1], v[48:49]
	v_mov_b32_e32 v53, v3
	v_pk_add_f32 v[22:23], v[22:23], v[110:111]
	v_pk_add_f32 v[24:25], v[24:25], v[82:83]
	;; [unrolled: 1-line block ×3, first 2 shown]
	ds_write2_b64 v105, v[22:23], v[24:25] offset0:8 offset1:9
	ds_write2_b64 v105, v[16:17], v[14:15] offset0:10 offset1:11
	ds_write_b64 v105, v[0:1] offset:96
.LBB0_13:
	s_or_b64 exec, exec, s[20:21]
	s_movk_i32 s0, 0x4f
	v_add_u32_e32 v28, 0xc3, v104
	v_mul_lo_u16_sdwa v0, v104, s0 dst_sel:DWORD dst_unused:UNUSED_PAD src0_sel:BYTE_0 src1_sel:DWORD
	s_movk_i32 s0, 0x4ec5
	v_lshrrev_b16_e32 v27, 10, v0
	v_mul_u32_u24_sdwa v0, v28, s0 dst_sel:DWORD dst_unused:UNUSED_PAD src0_sel:WORD_0 src1_sel:DWORD
	v_lshrrev_b32_e32 v29, 18, v0
	v_mul_lo_u16_e32 v8, 13, v27
	v_mul_lo_u16_e32 v0, 13, v29
	v_sub_u16_e32 v46, v28, v0
	v_sub_u16_e32 v47, v104, v8
	v_mov_b32_e32 v8, 5
	v_lshlrev_b32_e32 v9, 5, v46
	v_lshlrev_b32_sdwa v22, v8, v47 dst_sel:DWORD dst_unused:UNUSED_PAD src0_sel:DWORD src1_sel:BYTE_0
	s_waitcnt lgkmcnt(0)
	s_barrier
	global_load_dwordx4 v[0:3], v9, s[4:5] offset:16
	global_load_dwordx4 v[4:7], v9, s[4:5]
	s_nop 0
	global_load_dwordx4 v[8:11], v22, s[4:5]
	global_load_dwordx4 v[18:21], v22, s[4:5] offset:16
	v_lshl_add_u32 v26, v104, 3, 0
	v_add_u32_e32 v64, 0xc00, v26
	v_add_u32_e32 v65, 0x1800, v26
	;; [unrolled: 1-line block ×4, first 2 shown]
	ds_read2_b64 v[22:25], v26 offset1:195
	ds_read2_b64 v[30:33], v64 offset0:6 offset1:201
	ds_read2_b64 v[34:37], v65 offset0:12 offset1:207
	;; [unrolled: 1-line block ×4, first 2 shown]
	v_mov_b32_e32 v53, 3
	v_mul_u32_u24_e32 v27, 0x208, v27
	v_mul_u32_u24_e32 v29, 0x208, v29
	v_lshlrev_b32_sdwa v47, v53, v47 dst_sel:DWORD dst_unused:UNUSED_PAD src0_sel:DWORD src1_sel:BYTE_0
	v_lshlrev_b32_e32 v46, 3, v46
	v_add3_u32 v27, 0, v27, v47
	v_add3_u32 v29, 0, v29, v46
	s_mov_b32 s0, 0x3f737871
	s_mov_b32 s2, 0x3f167918
	;; [unrolled: 1-line block ×4, first 2 shown]
	s_waitcnt lgkmcnt(0)
	s_barrier
	s_mov_b32 s10, 0x3f4f1bbd
	s_waitcnt vmcnt(3)
	v_pk_mul_f32 v[50:51], v[40:41], v[0:1] op_sel:[0,1]
	s_waitcnt vmcnt(2)
	v_pk_mul_f32 v[46:47], v[4:5], v[32:33] op_sel:[0,1]
	v_mov_b32_e32 v48, v7
	s_waitcnt vmcnt(1)
	v_pk_mul_f32 v[54:55], v[8:9], v[30:31] op_sel:[0,1]
	v_pk_mul_f32 v[56:57], v[10:11], v[34:35] op_sel:[0,1]
	s_waitcnt vmcnt(0)
	v_pk_mul_f32 v[58:59], v[18:19], v[38:39] op_sel:[0,1]
	v_pk_mul_f32 v[60:61], v[20:21], v[42:43] op_sel:[0,1]
	v_pk_fma_f32 v[62:63], v[4:5], v[32:33], v[46:47] op_sel:[0,0,1] op_sel_hi:[1,1,0] neg_lo:[0,0,1] neg_hi:[0,0,1]
	v_pk_fma_f32 v[4:5], v[4:5], v[32:33], v[46:47] op_sel:[0,0,1] op_sel_hi:[1,0,0]
	v_pk_mul_f32 v[32:33], v[36:37], v[48:49] op_sel_hi:[1,0]
	v_pk_fma_f32 v[48:49], v[8:9], v[30:31], v[54:55] op_sel:[0,0,1] op_sel_hi:[1,1,0] neg_lo:[0,0,1] neg_hi:[0,0,1]
	v_pk_fma_f32 v[8:9], v[8:9], v[30:31], v[54:55] op_sel:[0,0,1] op_sel_hi:[1,0,0]
	v_pk_fma_f32 v[30:31], v[10:11], v[34:35], v[56:57] op_sel:[0,0,1] op_sel_hi:[1,1,0] neg_lo:[0,0,1] neg_hi:[0,0,1]
	v_pk_fma_f32 v[10:11], v[10:11], v[34:35], v[56:57] op_sel:[0,0,1] op_sel_hi:[1,0,0]
	;; [unrolled: 2-line block ×4, first 2 shown]
	v_mov_b32_e32 v52, v3
	v_mov_b32_e32 v49, v9
	;; [unrolled: 1-line block ×5, first 2 shown]
	v_pk_fma_f32 v[46:47], v[40:41], v[0:1], v[50:51] op_sel:[0,0,1] op_sel_hi:[1,1,0] neg_lo:[0,0,1] neg_hi:[0,0,1]
	v_pk_fma_f32 v[0:1], v[40:41], v[0:1], v[50:51] op_sel:[0,0,1] op_sel_hi:[1,0,0]
	v_pk_mul_f32 v[40:41], v[44:45], v[52:53] op_sel_hi:[1,0]
	v_pk_add_f32 v[8:9], v[30:31], v[34:35]
	v_pk_add_f32 v[10:11], v[48:49], v[38:39] neg_lo:[0,1] neg_hi:[0,1]
	v_mov_b32_e32 v63, v5
	v_pk_fma_f32 v[4:5], v[36:37], v[6:7], v[32:33] op_sel:[0,0,1] op_sel_hi:[1,1,0] neg_lo:[0,0,1] neg_hi:[0,0,1]
	v_pk_fma_f32 v[6:7], v[36:37], v[6:7], v[32:33] op_sel:[0,0,1] op_sel_hi:[1,0,0]
	v_mov_b32_e32 v47, v1
	v_pk_fma_f32 v[0:1], v[44:45], v[2:3], v[40:41] op_sel:[0,0,1] op_sel_hi:[1,1,0] neg_lo:[0,0,1] neg_hi:[0,0,1]
	v_pk_fma_f32 v[2:3], v[44:45], v[2:3], v[40:41] op_sel:[0,0,1] op_sel_hi:[1,0,0]
	v_pk_add_f32 v[18:19], v[30:31], v[34:35] neg_lo:[0,1] neg_hi:[0,1]
	v_pk_add_f32 v[20:21], v[48:49], v[30:31] neg_lo:[0,1] neg_hi:[0,1]
	v_pk_fma_f32 v[8:9], v[8:9], 0.5, v[22:23] op_sel_hi:[1,0,1] neg_lo:[1,0,0] neg_hi:[1,0,0]
	v_pk_mul_f32 v[32:33], v[10:11], s[0:1] op_sel_hi:[1,0]
	v_pk_add_f32 v[40:41], v[38:39], v[34:35] neg_lo:[0,1] neg_hi:[0,1]
	v_mov_b32_e32 v5, v7
	v_pk_add_f32 v[6:7], v[22:23], v[48:49]
	v_pk_mul_f32 v[36:37], v[18:19], s[2:3] op_sel_hi:[1,0]
	v_pk_add_f32 v[20:21], v[20:21], v[40:41]
	v_pk_add_f32 v[40:41], v[8:9], v[32:33] op_sel:[0,1] op_sel_hi:[1,0]
	v_pk_add_f32 v[8:9], v[8:9], v[32:33] op_sel:[0,1] op_sel_hi:[1,0] neg_lo:[0,1] neg_hi:[0,1]
	v_pk_add_f32 v[6:7], v[6:7], v[30:31]
	v_pk_add_f32 v[8:9], v[8:9], v[36:37] op_sel:[0,1] op_sel_hi:[1,0] neg_lo:[0,1] neg_hi:[0,1]
	v_pk_add_f32 v[32:33], v[40:41], v[36:37] op_sel:[0,1] op_sel_hi:[1,0]
	v_pk_add_f32 v[6:7], v[6:7], v[34:35]
	v_mov_b32_e32 v36, v32
	v_mov_b32_e32 v37, v9
	v_pk_add_f32 v[6:7], v[6:7], v[38:39]
	v_pk_fma_f32 v[36:37], v[20:21], s[6:7], v[36:37] op_sel_hi:[1,0,1]
	ds_write2_b64 v27, v[6:7], v[36:37] offset1:13
	v_pk_add_f32 v[6:7], v[48:49], v[38:39]
	v_pk_mul_f32 v[18:19], v[18:19], s[0:1] op_sel_hi:[1,0]
	v_pk_fma_f32 v[6:7], v[6:7], 0.5, v[22:23] op_sel_hi:[1,0,1] neg_lo:[1,0,0] neg_hi:[1,0,0]
	v_pk_add_f32 v[22:23], v[30:31], v[48:49] neg_lo:[0,1] neg_hi:[0,1]
	v_pk_add_f32 v[30:31], v[34:35], v[38:39] neg_lo:[0,1] neg_hi:[0,1]
	v_pk_mul_f32 v[10:11], v[10:11], s[2:3] op_sel_hi:[1,0]
	v_pk_add_f32 v[22:23], v[22:23], v[30:31]
	v_pk_add_f32 v[30:31], v[6:7], v[18:19] op_sel:[0,1] op_sel_hi:[1,0] neg_lo:[0,1] neg_hi:[0,1]
	v_pk_add_f32 v[6:7], v[6:7], v[18:19] op_sel:[0,1] op_sel_hi:[1,0]
	v_mov_b32_e32 v9, v33
	v_pk_add_f32 v[6:7], v[6:7], v[10:11] op_sel:[0,1] op_sel_hi:[1,0] neg_lo:[0,1] neg_hi:[0,1]
	v_pk_add_f32 v[10:11], v[30:31], v[10:11] op_sel:[0,1] op_sel_hi:[1,0]
	v_mov_b32_e32 v19, v7
	v_mov_b32_e32 v18, v10
	;; [unrolled: 1-line block ×3, first 2 shown]
	v_pk_fma_f32 v[18:19], v[22:23], s[6:7], v[18:19] op_sel_hi:[1,0,1]
	v_pk_fma_f32 v[6:7], v[22:23], s[6:7], v[6:7] op_sel_hi:[1,0,1]
	v_mov_b32_e32 v1, v3
	ds_write2_b64 v27, v[18:19], v[6:7] offset0:26 offset1:39
	v_pk_fma_f32 v[6:7], v[20:21], s[6:7], v[8:9] op_sel_hi:[1,0,1]
	ds_write_b64 v27, v[6:7] offset:416
	v_pk_add_f32 v[6:7], v[4:5], v[46:47]
	v_pk_add_f32 v[8:9], v[62:63], v[0:1] neg_lo:[0,1] neg_hi:[0,1]
	v_pk_fma_f32 v[6:7], v[6:7], 0.5, v[24:25] op_sel_hi:[1,0,1] neg_lo:[1,0,0] neg_hi:[1,0,0]
	v_pk_mul_f32 v[10:11], v[8:9], s[0:1] op_sel_hi:[1,0]
	v_pk_add_f32 v[18:19], v[4:5], v[46:47] neg_lo:[0,1] neg_hi:[0,1]
	v_pk_add_f32 v[22:23], v[62:63], v[4:5] neg_lo:[0,1] neg_hi:[0,1]
	v_pk_add_f32 v[30:31], v[0:1], v[46:47] neg_lo:[0,1] neg_hi:[0,1]
	v_pk_add_f32 v[2:3], v[24:25], v[62:63]
	v_pk_mul_f32 v[20:21], v[18:19], s[2:3] op_sel_hi:[1,0]
	v_pk_add_f32 v[22:23], v[22:23], v[30:31]
	v_pk_add_f32 v[30:31], v[6:7], v[10:11] op_sel:[0,1] op_sel_hi:[1,0]
	v_pk_add_f32 v[6:7], v[6:7], v[10:11] op_sel:[0,1] op_sel_hi:[1,0] neg_lo:[0,1] neg_hi:[0,1]
	v_pk_add_f32 v[2:3], v[2:3], v[4:5]
	v_pk_add_f32 v[6:7], v[6:7], v[20:21] op_sel:[0,1] op_sel_hi:[1,0] neg_lo:[0,1] neg_hi:[0,1]
	v_pk_add_f32 v[10:11], v[30:31], v[20:21] op_sel:[0,1] op_sel_hi:[1,0]
	v_pk_add_f32 v[2:3], v[2:3], v[46:47]
	v_mov_b32_e32 v20, v10
	v_mov_b32_e32 v21, v7
	v_pk_add_f32 v[2:3], v[2:3], v[0:1]
	v_pk_fma_f32 v[20:21], v[22:23], s[6:7], v[20:21] op_sel_hi:[1,0,1]
	ds_write2_b64 v29, v[2:3], v[20:21] offset1:13
	v_pk_add_f32 v[2:3], v[62:63], v[0:1]
	v_pk_add_f32 v[4:5], v[4:5], v[62:63] neg_lo:[0,1] neg_hi:[0,1]
	v_pk_add_f32 v[0:1], v[46:47], v[0:1] neg_lo:[0,1] neg_hi:[0,1]
	v_pk_fma_f32 v[2:3], v[2:3], 0.5, v[24:25] op_sel_hi:[1,0,1] neg_lo:[1,0,0] neg_hi:[1,0,0]
	v_pk_add_f32 v[0:1], v[4:5], v[0:1]
	v_pk_mul_f32 v[4:5], v[18:19], s[0:1] op_sel_hi:[1,0]
	v_pk_mul_f32 v[8:9], v[8:9], s[2:3] op_sel_hi:[1,0]
	v_pk_add_f32 v[18:19], v[2:3], v[4:5] op_sel:[0,1] op_sel_hi:[1,0] neg_lo:[0,1] neg_hi:[0,1]
	v_pk_add_f32 v[2:3], v[2:3], v[4:5] op_sel:[0,1] op_sel_hi:[1,0]
	v_pk_add_f32 v[4:5], v[18:19], v[8:9] op_sel:[0,1] op_sel_hi:[1,0]
	v_pk_add_f32 v[2:3], v[2:3], v[8:9] op_sel:[0,1] op_sel_hi:[1,0] neg_lo:[0,1] neg_hi:[0,1]
	v_mov_b32_e32 v8, v4
	v_mov_b32_e32 v9, v3
	;; [unrolled: 1-line block ×3, first 2 shown]
	v_pk_fma_f32 v[8:9], v[0:1], s[6:7], v[8:9] op_sel_hi:[1,0,1]
	v_pk_fma_f32 v[0:1], v[0:1], s[6:7], v[2:3] op_sel_hi:[1,0,1]
	v_mov_b32_e32 v7, v11
	ds_write2_b64 v29, v[8:9], v[0:1] offset0:26 offset1:39
	v_pk_fma_f32 v[0:1], v[22:23], s[6:7], v[6:7] op_sel_hi:[1,0,1]
	s_movk_i32 s1, 0xfd
	ds_write_b64 v29, v[0:1] offset:416
	v_mul_lo_u16_sdwa v0, v104, s1 dst_sel:DWORD dst_unused:UNUSED_PAD src0_sel:BYTE_0 src1_sel:DWORD
	v_lshrrev_b16_e32 v27, 14, v0
	v_mul_lo_u16_e32 v0, 0x41, v27
	v_sub_u16_e32 v29, v104, v0
	v_mov_b32_e32 v0, 9
	v_mul_u32_u24_sdwa v0, v29, v0 dst_sel:DWORD dst_unused:UNUSED_PAD src0_sel:BYTE_0 src1_sel:DWORD
	v_lshlrev_b32_e32 v22, 3, v0
	s_waitcnt lgkmcnt(0)
	s_barrier
	global_load_dwordx4 v[0:3], v22, s[4:5] offset:416
	global_load_dwordx4 v[4:7], v22, s[4:5] offset:432
	;; [unrolled: 1-line block ×4, first 2 shown]
	global_load_dwordx2 v[46:47], v22, s[4:5] offset:480
	ds_read2_b64 v[22:25], v64 offset0:6 offset1:201
	ds_read2_b64 v[30:33], v26 offset1:195
	ds_read2_b64 v[34:37], v65 offset0:12 offset1:207
	ds_read2_b64 v[38:41], v66 offset0:18 offset1:213
	;; [unrolled: 1-line block ×3, first 2 shown]
	s_waitcnt lgkmcnt(0)
	s_barrier
	s_waitcnt vmcnt(4)
	v_pk_mul_f32 v[48:49], v[2:3], v[22:23] op_sel:[0,1]
	s_nop 0
	v_pk_fma_f32 v[50:51], v[2:3], v[22:23], v[48:49] op_sel:[0,0,1] op_sel_hi:[1,1,0] neg_lo:[0,0,1] neg_hi:[0,0,1]
	v_pk_fma_f32 v[2:3], v[2:3], v[22:23], v[48:49] op_sel:[0,0,1] op_sel_hi:[1,0,0]
	s_nop 0
	v_mov_b32_e32 v51, v3
	s_waitcnt vmcnt(3)
	v_pk_mul_f32 v[2:3], v[6:7], v[34:35] op_sel:[0,1]
	s_nop 0
	v_pk_fma_f32 v[22:23], v[6:7], v[34:35], v[2:3] op_sel:[0,0,1] op_sel_hi:[1,1,0] neg_lo:[0,0,1] neg_hi:[0,0,1]
	v_pk_fma_f32 v[2:3], v[6:7], v[34:35], v[2:3] op_sel:[0,0,1] op_sel_hi:[1,0,0]
	s_waitcnt vmcnt(2)
	v_mov_b32_e32 v2, v11
	v_mov_b32_e32 v23, v3
	v_pk_mul_f32 v[2:3], v[38:39], v[2:3] op_sel_hi:[1,0]
	s_nop 0
	v_pk_fma_f32 v[6:7], v[38:39], v[10:11], v[2:3] op_sel:[0,0,1] op_sel_hi:[1,1,0] neg_lo:[0,0,1] neg_hi:[0,0,1]
	v_pk_fma_f32 v[2:3], v[38:39], v[10:11], v[2:3] op_sel:[0,0,1] op_sel_hi:[1,0,0]
	v_pk_add_f32 v[38:39], v[50:51], v[22:23] neg_lo:[0,1] neg_hi:[0,1]
	s_waitcnt vmcnt(1)
	v_mov_b32_e32 v2, v21
	v_mov_b32_e32 v7, v3
	v_pk_mul_f32 v[2:3], v[42:43], v[2:3] op_sel_hi:[1,0]
	v_pk_add_f32 v[34:35], v[22:23], v[6:7] neg_lo:[0,1] neg_hi:[0,1]
	v_pk_fma_f32 v[10:11], v[42:43], v[20:21], v[2:3] op_sel:[0,0,1] op_sel_hi:[1,1,0] neg_lo:[0,0,1] neg_hi:[0,0,1]
	v_pk_fma_f32 v[2:3], v[42:43], v[20:21], v[2:3] op_sel:[0,0,1] op_sel_hi:[1,0,0]
	s_nop 0
	v_mov_b32_e32 v11, v3
	v_pk_add_f32 v[2:3], v[22:23], v[6:7]
	v_pk_add_f32 v[20:21], v[50:51], v[10:11] neg_lo:[0,1] neg_hi:[0,1]
	v_pk_fma_f32 v[2:3], v[2:3], 0.5, v[30:31] op_sel_hi:[1,0,1] neg_lo:[1,0,0] neg_hi:[1,0,0]
	v_pk_add_f32 v[42:43], v[10:11], v[6:7] neg_lo:[0,1] neg_hi:[0,1]
	s_nop 0
	v_pk_add_f32 v[38:39], v[38:39], v[42:43]
	v_pk_fma_f32 v[42:43], v[20:21], s[0:1], v[2:3] op_sel:[1,0,0] op_sel_hi:[0,0,1] neg_lo:[1,0,0] neg_hi:[1,0,0]
	v_pk_fma_f32 v[2:3], v[20:21], s[0:1], v[2:3] op_sel:[1,0,0] op_sel_hi:[0,0,1]
	v_pk_fma_f32 v[2:3], v[34:35], s[2:3], v[2:3] op_sel:[1,0,0] op_sel_hi:[0,0,1]
	v_mov_b32_e32 v49, v3
	v_mul_u32_u24_e32 v3, 0x1450, v27
	v_lshlrev_b32_sdwa v27, v53, v29 dst_sel:DWORD dst_unused:UNUSED_PAD src0_sel:DWORD src1_sel:BYTE_0
	v_pk_mul_f32 v[52:53], v[0:1], v[32:33] op_sel:[0,1]
	v_pk_fma_f32 v[42:43], v[34:35], s[2:3], v[42:43] op_sel:[1,0,0] op_sel_hi:[0,0,1] neg_lo:[1,0,0] neg_hi:[1,0,0]
	v_pk_fma_f32 v[54:55], v[0:1], v[32:33], v[52:53] op_sel:[0,0,1] op_sel_hi:[1,1,0] neg_lo:[0,0,1] neg_hi:[0,0,1]
	v_pk_fma_f32 v[0:1], v[0:1], v[32:33], v[52:53] op_sel:[0,0,1] op_sel_hi:[1,0,0]
	v_mov_b32_e32 v48, v42
	v_mov_b32_e32 v55, v1
	v_pk_mul_f32 v[0:1], v[4:5], v[24:25] op_sel:[0,1]
	v_add3_u32 v27, 0, v3, v27
	v_pk_fma_f32 v[32:33], v[4:5], v[24:25], v[0:1] op_sel:[0,0,1] op_sel_hi:[1,1,0] neg_lo:[0,0,1] neg_hi:[0,0,1]
	v_pk_fma_f32 v[0:1], v[4:5], v[24:25], v[0:1] op_sel:[0,0,1] op_sel_hi:[1,0,0]
	v_mov_b32_e32 v3, v43
	v_mov_b32_e32 v33, v1
	v_pk_mul_f32 v[0:1], v[8:9], v[36:37] op_sel:[0,1]
	v_pk_fma_f32 v[48:49], v[38:39], s[6:7], v[48:49] op_sel_hi:[1,0,1]
	v_pk_fma_f32 v[4:5], v[8:9], v[36:37], v[0:1] op_sel:[0,0,1] op_sel_hi:[1,1,0] neg_lo:[0,0,1] neg_hi:[0,0,1]
	v_pk_fma_f32 v[0:1], v[8:9], v[36:37], v[0:1] op_sel:[0,0,1] op_sel_hi:[1,0,0]
	v_pk_add_f32 v[36:37], v[30:31], v[50:51]
	v_mov_b32_e32 v5, v1
	v_pk_mul_f32 v[0:1], v[40:41], v[18:19] op_sel:[0,1]
	v_pk_fma_f32 v[2:3], v[38:39], s[6:7], v[2:3] op_sel_hi:[1,0,1]
	v_pk_fma_f32 v[8:9], v[40:41], v[18:19], v[0:1] op_sel:[0,0,1] op_sel_hi:[1,1,0] neg_lo:[0,0,1] neg_hi:[0,0,1]
	v_pk_fma_f32 v[0:1], v[40:41], v[18:19], v[0:1] op_sel:[0,0,1] op_sel_hi:[1,0,0]
	v_pk_add_f32 v[36:37], v[36:37], v[22:23]
	v_mov_b32_e32 v9, v1
	s_waitcnt vmcnt(0)
	v_pk_mul_f32 v[0:1], v[44:45], v[46:47] op_sel:[0,1]
	v_pk_add_f32 v[18:19], v[4:5], v[8:9]
	v_pk_fma_f32 v[24:25], v[44:45], v[46:47], v[0:1] op_sel:[0,0,1] op_sel_hi:[1,1,0] neg_lo:[0,0,1] neg_hi:[0,0,1]
	v_pk_fma_f32 v[0:1], v[44:45], v[46:47], v[0:1] op_sel:[0,0,1] op_sel_hi:[1,0,0]
	v_pk_fma_f32 v[18:19], v[18:19], 0.5, v[54:55] op_sel_hi:[1,0,1] neg_lo:[1,0,0] neg_hi:[1,0,0]
	v_mov_b32_e32 v25, v1
	v_pk_add_f32 v[40:41], v[32:33], v[24:25] neg_lo:[0,1] neg_hi:[0,1]
	v_pk_add_f32 v[46:47], v[32:33], v[4:5] neg_lo:[0,1] neg_hi:[0,1]
	;; [unrolled: 1-line block ×4, first 2 shown]
	v_pk_add_f32 v[46:47], v[46:47], v[52:53]
	v_pk_fma_f32 v[52:53], v[40:41], s[0:1], v[18:19] op_sel:[0,0,1] op_sel_hi:[1,0,0]
	v_pk_fma_f32 v[18:19], v[40:41], s[0:1], v[18:19] op_sel:[0,0,1] op_sel_hi:[1,0,0] neg_lo:[1,0,0] neg_hi:[1,0,0]
	v_pk_fma_f32 v[52:53], v[44:45], s[2:3], v[52:53] op_sel_hi:[1,0,1]
	v_pk_fma_f32 v[56:57], v[44:45], s[2:3], v[18:19] op_sel_hi:[1,0,1] neg_lo:[1,0,0] neg_hi:[1,0,0]
	v_pk_mul_f32 v[46:47], v[46:47], s[6:7] op_sel_hi:[1,0]
	v_mov_b32_e32 v19, v57
	v_mov_b32_e32 v57, v53
	v_pk_add_f32 v[0:1], v[54:55], v[32:33]
	v_pk_add_f32 v[38:39], v[46:47], v[56:57] op_sel:[1,0] op_sel_hi:[0,1]
	v_pk_add_f32 v[0:1], v[0:1], v[4:5]
	v_mov_b32_e32 v18, v52
	v_pk_mul_f32 v[42:43], v[38:39], s[2:3] op_sel_hi:[1,0]
	v_pk_add_f32 v[0:1], v[0:1], v[8:9]
	v_pk_add_f32 v[36:37], v[36:37], v[6:7]
	v_pk_add_f32 v[18:19], v[46:47], v[18:19] op_sel:[1,0] op_sel_hi:[0,1]
	v_pk_fma_f32 v[46:47], v[38:39], s[10:11], v[42:43] op_sel:[0,0,1] op_sel_hi:[1,0,0]
	v_pk_fma_f32 v[38:39], v[38:39], s[10:11], v[42:43] op_sel:[0,0,1] op_sel_hi:[1,0,0] neg_lo:[0,0,1] neg_hi:[0,0,1]
	v_pk_add_f32 v[0:1], v[0:1], v[24:25]
	v_pk_add_f32 v[36:37], v[36:37], v[10:11]
	v_mov_b32_e32 v42, v47
	v_mov_b32_e32 v43, v38
	v_pk_add_f32 v[60:61], v[36:37], v[0:1]
	v_pk_add_f32 v[38:39], v[2:3], v[42:43]
	ds_write2_b64 v27, v[60:61], v[38:39] offset1:65
	v_pk_add_f32 v[38:39], v[50:51], v[10:11]
	v_pk_add_f32 v[22:23], v[22:23], v[50:51] neg_lo:[0,1] neg_hi:[0,1]
	v_pk_fma_f32 v[30:31], v[38:39], 0.5, v[30:31] op_sel_hi:[1,0,1] neg_lo:[1,0,0] neg_hi:[1,0,0]
	v_pk_add_f32 v[6:7], v[6:7], v[10:11] neg_lo:[0,1] neg_hi:[0,1]
	v_pk_fma_f32 v[10:11], v[34:35], s[0:1], v[30:31] op_sel:[1,0,0] op_sel_hi:[0,0,1] neg_lo:[1,0,0] neg_hi:[1,0,0]
	v_pk_add_f32 v[6:7], v[22:23], v[6:7]
	v_pk_fma_f32 v[22:23], v[34:35], s[0:1], v[30:31] op_sel:[1,0,0] op_sel_hi:[0,0,1]
	v_pk_add_f32 v[30:31], v[32:33], v[24:25]
	v_pk_add_f32 v[4:5], v[4:5], v[32:33] neg_lo:[0,1] neg_hi:[0,1]
	v_pk_add_f32 v[8:9], v[8:9], v[24:25] neg_lo:[0,1] neg_hi:[0,1]
	v_pk_fma_f32 v[30:31], v[30:31], 0.5, v[54:55] op_sel_hi:[1,0,1] neg_lo:[1,0,0] neg_hi:[1,0,0]
	v_pk_add_f32 v[4:5], v[4:5], v[8:9]
	v_pk_mul_f32 v[8:9], v[44:45], s[0:1] op_sel_hi:[1,0]
	v_pk_mul_f32 v[24:25], v[40:41], s[2:3] op_sel_hi:[1,0]
	v_pk_add_f32 v[32:33], v[30:31], v[8:9] op_sel:[0,1] op_sel_hi:[1,0] neg_lo:[0,1] neg_hi:[0,1]
	v_pk_add_f32 v[8:9], v[30:31], v[8:9] op_sel:[0,1] op_sel_hi:[1,0]
	v_pk_mul_f32 v[58:59], v[18:19], s[10:11] op_sel_hi:[1,0]
	v_pk_add_f32 v[8:9], v[8:9], v[24:25] op_sel:[0,1] op_sel_hi:[1,0] neg_lo:[0,1] neg_hi:[0,1]
	v_pk_add_f32 v[24:25], v[32:33], v[24:25] op_sel:[0,1] op_sel_hi:[1,0]
	v_mov_b32_e32 v31, v9
	v_mov_b32_e32 v30, v24
	v_pk_fma_f32 v[30:31], v[4:5], s[6:7], v[30:31] op_sel_hi:[1,0,1]
	v_mov_b32_e32 v9, v25
	v_pk_fma_f32 v[22:23], v[20:21], s[2:3], v[22:23] op_sel:[1,0,0] op_sel_hi:[0,0,1] neg_lo:[1,0,0] neg_hi:[1,0,0]
	v_pk_fma_f32 v[10:11], v[20:21], s[2:3], v[10:11] op_sel:[1,0,0] op_sel_hi:[0,0,1]
	v_pk_mul_f32 v[32:33], v[30:31], s[0:1] op_sel_hi:[1,0]
	v_pk_fma_f32 v[4:5], v[4:5], s[6:7], v[8:9] op_sel_hi:[1,0,1]
	v_pk_fma_f32 v[58:59], v[18:19], s[2:3], v[58:59] op_sel:[0,0,1] op_sel_hi:[1,1,0] neg_lo:[0,0,1] neg_hi:[0,0,1]
	v_mov_b32_e32 v20, v10
	v_mov_b32_e32 v21, v23
	v_pk_fma_f32 v[34:35], v[30:31], s[6:7], v[32:33] op_sel:[0,0,1] op_sel_hi:[1,0,0]
	v_pk_fma_f32 v[30:31], v[30:31], s[6:7], v[32:33] op_sel:[0,0,1] op_sel_hi:[1,0,0] neg_lo:[0,0,1] neg_hi:[0,0,1]
	v_mov_b32_e32 v23, v11
	s_mov_b32 s2, 0xbf737871
	s_mov_b32 s3, s0
	v_pk_mul_f32 v[8:9], v[4:5], s[6:7] op_sel_hi:[1,0]
	v_pk_fma_f32 v[20:21], v[6:7], s[6:7], v[20:21] op_sel_hi:[1,0,1]
	v_mov_b32_e32 v35, v31
	v_pk_fma_f32 v[6:7], v[6:7], s[6:7], v[22:23] op_sel_hi:[1,0,1]
	v_pk_fma_f32 v[4:5], v[4:5], s[2:3], v[8:9] op_sel:[0,0,1] op_sel_hi:[1,1,0] neg_lo:[0,0,1] neg_hi:[0,0,1]
	v_pk_add_f32 v[30:31], v[20:21], v[34:35]
	v_pk_add_f32 v[8:9], v[6:7], v[4:5] op_sel:[0,1] op_sel_hi:[1,0]
	ds_write2_b64 v27, v[30:31], v[8:9] offset0:130 offset1:195
	v_pk_add_f32 v[8:9], v[48:49], v[58:59]
	v_pk_add_f32 v[0:1], v[36:37], v[0:1] neg_lo:[0,1] neg_hi:[0,1]
	v_add_u32_e32 v10, 0x800, v27
	ds_write2_b64 v10, v[8:9], v[0:1] offset0:4 offset1:69
	v_pk_add_f32 v[0:1], v[2:3], v[42:43] neg_lo:[0,1] neg_hi:[0,1]
	v_pk_add_f32 v[2:3], v[20:21], v[34:35] neg_lo:[0,1] neg_hi:[0,1]
	;; [unrolled: 1-line block ×3, first 2 shown]
	ds_write2_b64 v10, v[0:1], v[2:3] offset0:134 offset1:199
	v_pk_add_f32 v[0:1], v[6:7], v[4:5] op_sel:[0,1] op_sel_hi:[1,0] neg_lo:[0,1] neg_hi:[0,1]
	v_add_u32_e32 v2, 0x1000, v27
	v_add_u32_e32 v4, 0x1400, v26
	;; [unrolled: 1-line block ×3, first 2 shown]
	ds_write2_b64 v2, v[0:1], v[18:19] offset0:8 offset1:73
	s_waitcnt lgkmcnt(0)
	s_barrier
	ds_read2_b64 v[0:3], v26 offset1:195
	ds_read2_b64 v[4:7], v4 offset0:10 offset1:205
	ds_read2_b64 v[8:11], v8 offset0:20 offset1:215
	ds_read_b64 v[20:21], v26 offset:3120
	ds_read_b64 v[24:25], v26 offset:8320
	;; [unrolled: 1-line block ×3, first 2 shown]
	s_movk_i32 s0, 0x41
	v_cmp_gt_u32_e64 s[0:1], s0, v104
	s_and_saveexec_b64 s[2:3], s[0:1]
	s_cbranch_execz .LBB0_15
; %bb.14:
	ds_read_b64 v[18:19], v26 offset:4680
	ds_read_b64 v[16:17], v26 offset:9880
	;; [unrolled: 1-line block ×3, first 2 shown]
.LBB0_15:
	s_or_b64 exec, exec, s[2:3]
	s_and_saveexec_b64 s[2:3], vcc
	s_cbranch_execz .LBB0_18
; %bb.16:
	v_add_u32_e32 v60, 0x186, v104
	v_lshlrev_b32_e32 v26, 1, v60
	v_mov_b32_e32 v27, 0
	v_lshl_add_u64 v[38:39], v[26:27], 3, s[4:5]
	v_lshlrev_b32_e32 v26, 1, v28
	v_lshl_add_u64 v[34:35], v[26:27], 3, s[4:5]
	v_lshlrev_b32_e32 v26, 1, v104
	v_lshl_add_u64 v[30:31], v[26:27], 3, s[4:5]
	s_movk_i32 s10, 0x1000
	v_add_co_u32_e32 v30, vcc, s10, v30
	v_mad_u64_u32 v[40:41], s[2:3], s8, v104, 0
	s_nop 0
	v_addc_co_u32_e32 v31, vcc, 0, v31, vcc
	global_load_dwordx4 v[30:33], v[30:31], off offset:1000
	v_add_co_u32_e32 v34, vcc, s10, v34
	v_add_u32_e32 v49, 0x28a, v104
	s_nop 0
	v_addc_co_u32_e32 v35, vcc, 0, v35, vcc
	global_load_dwordx4 v[34:37], v[34:35], off offset:1000
	v_mad_u64_u32 v[42:43], s[6:7], s8, v28, 0
	v_add_u32_e32 v59, 0x34d, v104
	v_add_u32_e32 v61, 0x5d7, v104
	v_mov_b32_e32 v26, v41
	v_mad_u64_u32 v[44:45], s[6:7], s8, v49, 0
	v_mov_b32_e32 v48, v43
	v_mad_u64_u32 v[50:51], s[6:7], s8, v59, 0
	v_mad_u64_u32 v[52:53], s[6:7], s8, v61, 0
	;; [unrolled: 1-line block ×3, first 2 shown]
	v_add_co_u32_e32 v38, vcc, s10, v38
	v_mov_b32_e32 v26, v45
	v_mad_u64_u32 v[28:29], s[6:7], s9, v28, v[48:49]
	v_mov_b32_e32 v48, v51
	v_mov_b32_e32 v58, v53
	;; [unrolled: 1-line block ×3, first 2 shown]
	v_addc_co_u32_e32 v39, vcc, 0, v39, vcc
	v_mad_u64_u32 v[54:55], s[6:7], s9, v49, v[26:27]
	v_mov_b32_e32 v43, v28
	v_mad_u64_u32 v[28:29], s[6:7], s9, v59, v[48:49]
	v_mad_u64_u32 v[48:49], s[6:7], s9, v61, v[58:59]
	v_lshl_add_u64 v[58:59], v[40:41], 3, v[12:13]
	global_load_dwordx4 v[38:41], v[38:39], off offset:1000
	v_add_u32_e32 v57, 0x514, v104
	v_mad_u64_u32 v[46:47], s[6:7], s8, v57, 0
	v_mov_b32_e32 v56, v47
	v_mad_u64_u32 v[56:57], s[6:7], s9, v57, v[56:57]
	v_mov_b32_e32 v45, v54
	v_mov_b32_e32 v47, v56
	;; [unrolled: 1-line block ×4, first 2 shown]
	v_lshl_add_u64 v[28:29], v[44:45], 3, v[12:13]
	v_lshl_add_u64 v[44:45], v[46:47], 3, v[12:13]
	;; [unrolled: 1-line block ×4, first 2 shown]
	s_movk_i32 s3, 0x514
	s_mov_b32 s2, 0x3f5db3d7
	v_lshl_add_u64 v[42:43], v[42:43], 3, v[12:13]
	s_mov_b32 s6, 0xc9a633fd
	s_waitcnt vmcnt(2) lgkmcnt(4)
	v_pk_mul_f32 v[50:51], v[30:31], v[4:5] op_sel:[0,1]
	s_waitcnt lgkmcnt(3)
	v_pk_mul_f32 v[52:53], v[32:33], v[8:9] op_sel:[0,1]
	v_pk_fma_f32 v[54:55], v[30:31], v[4:5], v[50:51] op_sel:[0,0,1] op_sel_hi:[1,1,0] neg_lo:[0,0,1] neg_hi:[0,0,1]
	v_pk_fma_f32 v[4:5], v[30:31], v[4:5], v[50:51] op_sel:[0,0,1] op_sel_hi:[1,0,0]
	v_pk_fma_f32 v[30:31], v[32:33], v[8:9], v[52:53] op_sel:[0,0,1] op_sel_hi:[1,1,0] neg_lo:[0,0,1] neg_hi:[0,0,1]
	v_pk_fma_f32 v[8:9], v[32:33], v[8:9], v[52:53] op_sel:[0,0,1] op_sel_hi:[1,0,0]
	v_mov_b32_e32 v55, v5
	v_mov_b32_e32 v31, v9
	v_pk_add_f32 v[4:5], v[54:55], v[30:31]
	v_pk_add_f32 v[8:9], v[54:55], v[30:31] neg_lo:[0,1] neg_hi:[0,1]
	v_pk_add_f32 v[32:33], v[0:1], v[54:55]
	v_pk_fma_f32 v[0:1], v[4:5], 0.5, v[0:1] op_sel_hi:[1,0,1] neg_lo:[1,0,0] neg_hi:[1,0,0]
	v_pk_mul_f32 v[4:5], v[8:9], s[2:3] op_sel_hi:[1,0]
	v_pk_add_f32 v[8:9], v[32:33], v[30:31]
	v_pk_add_f32 v[30:31], v[0:1], v[4:5] op_sel:[0,1] op_sel_hi:[1,0] neg_lo:[0,1] neg_hi:[0,1]
	v_pk_add_f32 v[0:1], v[0:1], v[4:5] op_sel:[0,1] op_sel_hi:[1,0]
	v_mov_b32_e32 v5, v31
	v_mov_b32_e32 v4, v0
	;; [unrolled: 1-line block ×3, first 2 shown]
	s_waitcnt vmcnt(1)
	v_pk_mul_f32 v[0:1], v[34:35], v[6:7] op_sel:[0,1]
	global_store_dwordx2 v[58:59], v[8:9], off
	global_store_dwordx2 v[28:29], v[4:5], off
	;; [unrolled: 1-line block ×3, first 2 shown]
	v_pk_fma_f32 v[4:5], v[34:35], v[6:7], v[0:1] op_sel:[0,0,1] op_sel_hi:[1,1,0] neg_lo:[0,0,1] neg_hi:[0,0,1]
	v_pk_fma_f32 v[0:1], v[34:35], v[6:7], v[0:1] op_sel:[0,0,1] op_sel_hi:[1,0,0]
	s_nop 0
	v_mov_b32_e32 v5, v1
	v_pk_mul_f32 v[0:1], v[36:37], v[10:11] op_sel:[0,1]
	s_nop 0
	v_pk_fma_f32 v[6:7], v[36:37], v[10:11], v[0:1] op_sel:[0,0,1] op_sel_hi:[1,1,0] neg_lo:[0,0,1] neg_hi:[0,0,1]
	v_pk_fma_f32 v[0:1], v[36:37], v[10:11], v[0:1] op_sel:[0,0,1] op_sel_hi:[1,0,0]
	s_nop 0
	v_mov_b32_e32 v7, v1
	v_pk_add_f32 v[0:1], v[4:5], v[6:7]
	v_pk_add_f32 v[8:9], v[4:5], v[6:7] neg_lo:[0,1] neg_hi:[0,1]
	v_pk_fma_f32 v[0:1], v[0:1], 0.5, v[2:3] op_sel_hi:[1,0,1] neg_lo:[1,0,0] neg_hi:[1,0,0]
	v_pk_mul_f32 v[8:9], v[8:9], s[2:3] op_sel_hi:[1,0]
	v_pk_add_f32 v[2:3], v[2:3], v[4:5]
	v_pk_add_f32 v[10:11], v[0:1], v[8:9] op_sel:[0,1] op_sel_hi:[1,0] neg_lo:[0,1] neg_hi:[0,1]
	v_pk_add_f32 v[0:1], v[0:1], v[8:9] op_sel:[0,1] op_sel_hi:[1,0]
	v_pk_add_f32 v[2:3], v[2:3], v[6:7]
	global_store_dwordx2 v[42:43], v[2:3], off
	v_mov_b32_e32 v2, v0
	v_mul_hi_u32 v0, v60, s6
	v_lshrrev_b32_e32 v0, 9, v0
	v_mad_u32_u24 v6, v0, s3, v60
	v_mov_b32_e32 v3, v11
	v_mov_b32_e32 v11, v1
	v_mad_u64_u32 v[0:1], s[6:7], s8, v6, 0
	global_store_dwordx2 v[46:47], v[2:3], off
	v_mov_b32_e32 v2, v1
	v_mad_u64_u32 v[2:3], s[6:7], s9, v6, v[2:3]
	v_add_u32_e32 v5, 0x28a, v6
	v_mov_b32_e32 v1, v2
	v_mad_u64_u32 v[2:3], s[6:7], s8, v5, 0
	v_mov_b32_e32 v4, v3
	v_mad_u64_u32 v[4:5], s[6:7], s9, v5, v[4:5]
	v_add_u32_e32 v7, 0x514, v6
	v_mov_b32_e32 v3, v4
	v_mad_u64_u32 v[4:5], s[6:7], s8, v7, 0
	v_mov_b32_e32 v6, v5
	v_mad_u64_u32 v[6:7], s[6:7], s9, v7, v[6:7]
	v_mov_b32_e32 v5, v6
	s_waitcnt vmcnt(5) lgkmcnt(1)
	v_pk_mul_f32 v[6:7], v[38:39], v[24:25] op_sel:[0,1]
	global_store_dwordx2 v[48:49], v[10:11], off
	v_pk_fma_f32 v[8:9], v[38:39], v[24:25], v[6:7] op_sel:[0,0,1] op_sel_hi:[1,1,0] neg_lo:[0,0,1] neg_hi:[0,0,1]
	v_pk_fma_f32 v[6:7], v[38:39], v[24:25], v[6:7] op_sel:[0,0,1] op_sel_hi:[1,0,0]
	v_lshl_add_u64 v[0:1], v[0:1], 3, v[12:13]
	v_mov_b32_e32 v9, v7
	s_waitcnt lgkmcnt(0)
	v_pk_mul_f32 v[6:7], v[40:41], v[22:23] op_sel:[0,1]
	v_lshl_add_u64 v[2:3], v[2:3], 3, v[12:13]
	v_pk_fma_f32 v[10:11], v[40:41], v[22:23], v[6:7] op_sel:[0,0,1] op_sel_hi:[1,1,0] neg_lo:[0,0,1] neg_hi:[0,0,1]
	v_pk_fma_f32 v[6:7], v[40:41], v[22:23], v[6:7] op_sel:[0,0,1] op_sel_hi:[1,0,0]
	v_lshl_add_u64 v[4:5], v[4:5], 3, v[12:13]
	v_mov_b32_e32 v11, v7
	v_pk_add_f32 v[6:7], v[10:11], v[8:9]
	v_pk_add_f32 v[22:23], v[8:9], v[10:11] neg_lo:[0,1] neg_hi:[0,1]
	v_pk_fma_f32 v[6:7], v[6:7], 0.5, v[20:21] op_sel_hi:[1,0,1] neg_lo:[1,0,0] neg_hi:[1,0,0]
	v_pk_mul_f32 v[22:23], v[22:23], s[2:3] op_sel_hi:[1,0]
	v_pk_add_f32 v[8:9], v[20:21], v[8:9]
	v_pk_add_f32 v[24:25], v[6:7], v[22:23] op_sel:[0,1] op_sel_hi:[1,0] neg_lo:[0,1] neg_hi:[0,1]
	v_pk_add_f32 v[6:7], v[6:7], v[22:23] op_sel:[0,1] op_sel_hi:[1,0]
	v_pk_add_f32 v[8:9], v[10:11], v[8:9]
	global_store_dwordx2 v[0:1], v[8:9], off
	v_mov_b32_e32 v0, v6
	v_mov_b32_e32 v1, v25
	;; [unrolled: 1-line block ×3, first 2 shown]
	global_store_dwordx2 v[2:3], v[0:1], off
	global_store_dwordx2 v[4:5], v[24:25], off
	s_and_b64 exec, exec, s[0:1]
	s_cbranch_execz .LBB0_18
; %bb.17:
	v_add_u32_e32 v5, 0x249, v104
	v_add_u32_e32 v0, 0xffffffbf, v104
	v_cndmask_b32_e64 v0, v0, v5, s[0:1]
	v_lshlrev_b32_e32 v26, 1, v0
	v_lshl_add_u64 v[0:1], v[26:27], 3, s[4:5]
	v_add_co_u32_e32 v0, vcc, 0x1000, v0
	v_add_u32_e32 v23, 0x4d3, v104
	s_nop 0
	v_addc_co_u32_e32 v1, vcc, 0, v1, vcc
	global_load_dwordx4 v[0:3], v[0:1], off offset:1000
	v_add_u32_e32 v25, 0x75d, v104
	v_mad_u64_u32 v[6:7], s[0:1], s8, v5, 0
	v_mad_u64_u32 v[8:9], s[0:1], s8, v23, 0
	;; [unrolled: 1-line block ×3, first 2 shown]
	v_mov_b32_e32 v20, v7
	v_mov_b32_e32 v22, v9
	;; [unrolled: 1-line block ×3, first 2 shown]
	v_mad_u64_u32 v[20:21], s[0:1], s9, v5, v[20:21]
	v_mad_u64_u32 v[22:23], s[0:1], s9, v23, v[22:23]
	;; [unrolled: 1-line block ×3, first 2 shown]
	v_mov_b32_e32 v4, v17
	v_mov_b32_e32 v7, v20
	;; [unrolled: 1-line block ×4, first 2 shown]
	v_lshl_add_u64 v[6:7], v[6:7], 3, v[12:13]
	v_lshl_add_u64 v[8:9], v[8:9], 3, v[12:13]
	;; [unrolled: 1-line block ×3, first 2 shown]
	s_waitcnt vmcnt(0)
	v_pk_mul_f32 v[4:5], v[4:5], v[0:1] op_sel_hi:[0,1]
	v_pk_mul_f32 v[12:13], v[14:15], v[2:3] op_sel:[1,0]
	v_pk_fma_f32 v[20:21], v[16:17], v[0:1], v[4:5] op_sel:[0,0,1] op_sel_hi:[1,1,0] neg_lo:[0,0,1] neg_hi:[0,0,1]
	v_pk_fma_f32 v[0:1], v[16:17], v[0:1], v[4:5] op_sel:[0,0,1] op_sel_hi:[0,1,0]
	v_pk_fma_f32 v[4:5], v[14:15], v[2:3], v[12:13] op_sel:[0,0,1] op_sel_hi:[1,1,0] neg_lo:[0,0,1] neg_hi:[0,0,1]
	v_pk_fma_f32 v[2:3], v[14:15], v[2:3], v[12:13] op_sel:[0,0,1] op_sel_hi:[0,1,0]
	v_mov_b32_e32 v21, v1
	v_mov_b32_e32 v5, v3
	v_pk_add_f32 v[0:1], v[20:21], v[4:5]
	v_pk_add_f32 v[2:3], v[20:21], v[4:5] neg_lo:[0,1] neg_hi:[0,1]
	v_pk_add_f32 v[12:13], v[18:19], v[20:21]
	v_pk_fma_f32 v[0:1], -0.5, v[0:1], v[18:19] op_sel_hi:[0,1,1]
	v_pk_mul_f32 v[2:3], v[2:3], s[2:3] op_sel_hi:[1,0]
	v_pk_add_f32 v[4:5], v[12:13], v[4:5]
	v_pk_add_f32 v[12:13], v[0:1], v[2:3] op_sel:[0,1] op_sel_hi:[1,0]
	v_pk_add_f32 v[0:1], v[0:1], v[2:3] op_sel:[0,1] op_sel_hi:[1,0] neg_lo:[0,1] neg_hi:[0,1]
	v_mov_b32_e32 v2, v12
	v_mov_b32_e32 v3, v1
	global_store_dwordx2 v[6:7], v[4:5], off
	v_mov_b32_e32 v1, v13
	global_store_dwordx2 v[8:9], v[2:3], off
	global_store_dwordx2 v[10:11], v[0:1], off
.LBB0_18:
	s_endpgm
	.section	.rodata,"a",@progbits
	.p2align	6, 0x0
	.amdhsa_kernel fft_rtc_fwd_len1950_factors_13_5_10_3_wgs_195_tpt_195_sp_ip_CI_sbrr_dirReg
		.amdhsa_group_segment_fixed_size 0
		.amdhsa_private_segment_fixed_size 0
		.amdhsa_kernarg_size 88
		.amdhsa_user_sgpr_count 2
		.amdhsa_user_sgpr_dispatch_ptr 0
		.amdhsa_user_sgpr_queue_ptr 0
		.amdhsa_user_sgpr_kernarg_segment_ptr 1
		.amdhsa_user_sgpr_dispatch_id 0
		.amdhsa_user_sgpr_kernarg_preload_length 0
		.amdhsa_user_sgpr_kernarg_preload_offset 0
		.amdhsa_user_sgpr_private_segment_size 0
		.amdhsa_uses_dynamic_stack 0
		.amdhsa_enable_private_segment 0
		.amdhsa_system_sgpr_workgroup_id_x 1
		.amdhsa_system_sgpr_workgroup_id_y 0
		.amdhsa_system_sgpr_workgroup_id_z 0
		.amdhsa_system_sgpr_workgroup_info 0
		.amdhsa_system_vgpr_workitem_id 0
		.amdhsa_next_free_vgpr 126
		.amdhsa_next_free_sgpr 46
		.amdhsa_accum_offset 128
		.amdhsa_reserve_vcc 1
		.amdhsa_float_round_mode_32 0
		.amdhsa_float_round_mode_16_64 0
		.amdhsa_float_denorm_mode_32 3
		.amdhsa_float_denorm_mode_16_64 3
		.amdhsa_dx10_clamp 1
		.amdhsa_ieee_mode 1
		.amdhsa_fp16_overflow 0
		.amdhsa_tg_split 0
		.amdhsa_exception_fp_ieee_invalid_op 0
		.amdhsa_exception_fp_denorm_src 0
		.amdhsa_exception_fp_ieee_div_zero 0
		.amdhsa_exception_fp_ieee_overflow 0
		.amdhsa_exception_fp_ieee_underflow 0
		.amdhsa_exception_fp_ieee_inexact 0
		.amdhsa_exception_int_div_zero 0
	.end_amdhsa_kernel
	.text
.Lfunc_end0:
	.size	fft_rtc_fwd_len1950_factors_13_5_10_3_wgs_195_tpt_195_sp_ip_CI_sbrr_dirReg, .Lfunc_end0-fft_rtc_fwd_len1950_factors_13_5_10_3_wgs_195_tpt_195_sp_ip_CI_sbrr_dirReg
                                        ; -- End function
	.section	.AMDGPU.csdata,"",@progbits
; Kernel info:
; codeLenInByte = 8440
; NumSgprs: 52
; NumVgprs: 126
; NumAgprs: 0
; TotalNumVgprs: 126
; ScratchSize: 0
; MemoryBound: 0
; FloatMode: 240
; IeeeMode: 1
; LDSByteSize: 0 bytes/workgroup (compile time only)
; SGPRBlocks: 6
; VGPRBlocks: 15
; NumSGPRsForWavesPerEU: 52
; NumVGPRsForWavesPerEU: 126
; AccumOffset: 128
; Occupancy: 4
; WaveLimiterHint : 1
; COMPUTE_PGM_RSRC2:SCRATCH_EN: 0
; COMPUTE_PGM_RSRC2:USER_SGPR: 2
; COMPUTE_PGM_RSRC2:TRAP_HANDLER: 0
; COMPUTE_PGM_RSRC2:TGID_X_EN: 1
; COMPUTE_PGM_RSRC2:TGID_Y_EN: 0
; COMPUTE_PGM_RSRC2:TGID_Z_EN: 0
; COMPUTE_PGM_RSRC2:TIDIG_COMP_CNT: 0
; COMPUTE_PGM_RSRC3_GFX90A:ACCUM_OFFSET: 31
; COMPUTE_PGM_RSRC3_GFX90A:TG_SPLIT: 0
	.text
	.p2alignl 6, 3212836864
	.fill 256, 4, 3212836864
	.type	__hip_cuid_c43c0dade2eeeab8,@object ; @__hip_cuid_c43c0dade2eeeab8
	.section	.bss,"aw",@nobits
	.globl	__hip_cuid_c43c0dade2eeeab8
__hip_cuid_c43c0dade2eeeab8:
	.byte	0                               ; 0x0
	.size	__hip_cuid_c43c0dade2eeeab8, 1

	.ident	"AMD clang version 19.0.0git (https://github.com/RadeonOpenCompute/llvm-project roc-6.4.0 25133 c7fe45cf4b819c5991fe208aaa96edf142730f1d)"
	.section	".note.GNU-stack","",@progbits
	.addrsig
	.addrsig_sym __hip_cuid_c43c0dade2eeeab8
	.amdgpu_metadata
---
amdhsa.kernels:
  - .agpr_count:     0
    .args:
      - .actual_access:  read_only
        .address_space:  global
        .offset:         0
        .size:           8
        .value_kind:     global_buffer
      - .offset:         8
        .size:           8
        .value_kind:     by_value
      - .actual_access:  read_only
        .address_space:  global
        .offset:         16
        .size:           8
        .value_kind:     global_buffer
      - .actual_access:  read_only
        .address_space:  global
        .offset:         24
        .size:           8
        .value_kind:     global_buffer
      - .offset:         32
        .size:           8
        .value_kind:     by_value
      - .actual_access:  read_only
        .address_space:  global
        .offset:         40
        .size:           8
        .value_kind:     global_buffer
      - .actual_access:  read_only
        .address_space:  global
        .offset:         48
        .size:           8
        .value_kind:     global_buffer
      - .offset:         56
        .size:           4
        .value_kind:     by_value
      - .actual_access:  read_only
        .address_space:  global
        .offset:         64
        .size:           8
        .value_kind:     global_buffer
      - .actual_access:  read_only
        .address_space:  global
        .offset:         72
        .size:           8
        .value_kind:     global_buffer
      - .address_space:  global
        .offset:         80
        .size:           8
        .value_kind:     global_buffer
    .group_segment_fixed_size: 0
    .kernarg_segment_align: 8
    .kernarg_segment_size: 88
    .language:       OpenCL C
    .language_version:
      - 2
      - 0
    .max_flat_workgroup_size: 195
    .name:           fft_rtc_fwd_len1950_factors_13_5_10_3_wgs_195_tpt_195_sp_ip_CI_sbrr_dirReg
    .private_segment_fixed_size: 0
    .sgpr_count:     52
    .sgpr_spill_count: 0
    .symbol:         fft_rtc_fwd_len1950_factors_13_5_10_3_wgs_195_tpt_195_sp_ip_CI_sbrr_dirReg.kd
    .uniform_work_group_size: 1
    .uses_dynamic_stack: false
    .vgpr_count:     126
    .vgpr_spill_count: 0
    .wavefront_size: 64
amdhsa.target:   amdgcn-amd-amdhsa--gfx950
amdhsa.version:
  - 1
  - 2
...

	.end_amdgpu_metadata
